;; amdgpu-corpus repo=ROCm/aiter kind=harvested arch=n/a opt=n/a

/root/src/amdgpu-assembly/repos/ROCm__aiter/hsa/gfx950/fmoe/silu/fmoe_fp16_pertokenFp8_g1u1_vs_silu_1tg_ps_32x320.co:	file format elf64-amdgpu

Disassembly of section .text:

0000000000002e00 <_ZN5aiter48fmoe_fp16_pertokenFp8_g1u1_vs_silu_1tg_ps_32x320E>:
	v_lshrrev_b32_e32 v1, 10, v0                               // 000000002E00: 2002008A
	v_lshrrev_b32_e32 v2, 10, v1                               // 000000002E04: 2004028A
	v_and_b32_e32 v2, 0x3ff, v2                                // 000000002E08: 260404FF 000003FF
	v_and_b32_e32 v1, 0x3ff, v1                                // 000000002E10: 260202FF 000003FF
	v_and_b32_e32 v0, 0x3ff, v0                                // 000000002E18: 260000FF 000003FF
	v_lshrrev_b32_e32 v3, 6, v0                                // 000000002E20: 20060086
	v_and_b32_e32 v0, 63, v0                                   // 000000002E24: 260000BF
	s_mov_b32 s2, s2                                           // 000000002E28: BE820002
	s_mov_b32 s3, s3                                           // 000000002E2C: BE830003
	s_mov_b32 s4, s4                                           // 000000002E30: BE840004
	s_mov_b32 s99, s2                                          // 000000002E34: BEE30002
	v_readfirstlane_b32 s7, v3                                 // 000000002E38: 7E0E0503
	s_and_b32 s1, s1, 0xffff                                   // 000000002E3C: 8601FF01 0000FFFF
	s_mov_b32 s96, 0                                           // 000000002E44: BEE00080
	s_mov_b32 s97, 0                                           // 000000002E48: BEE10080
	s_mov_b32 s100, 0                                          // 000000002E4C: BEE40080
	s_load_dword s96, s[0:1], 0x1a0                            // 000000002E50: C0021800 000001A0
	s_load_dword s97, s[0:1], 0x1b0                            // 000000002E58: C0021840 000001B0
	s_waitcnt lgkmcnt(0)                                       // 000000002E60: BF8CC07F
	s_cmp_eq_u32 s96, 0                                        // 000000002E64: BF068060
	s_cbranch_scc1 label_005C                                  // 000000002E68: BF850041
	v_cvt_f32_u32_e32 v50, s97                                 // 000000002E6C: 7E640C61
	s_sub_i32 s60, 0, s97                                      // 000000002E70: 81BC6180
	v_rcp_iflag_f32_e32 v50, v50                               // 000000002E74: 7E644732
	s_nop 0                                                    // 000000002E78: BF800000
	v_mul_f32_e32 v50, 0x4f7ffffe, v50                         // 000000002E7C: 0A6464FF 4F7FFFFE
	v_cvt_u32_f32_e32 v50, v50                                 // 000000002E84: 7E640F32
	v_mul_lo_u32 v51, s60, v50                                 // 000000002E88: D2850033 0002643C
	v_mul_hi_u32 v51, v50, v51                                 // 000000002E90: D2860033 00026732
	v_add_u32_e32 v50, v50, v51                                // 000000002E98: 68646732
	v_mul_hi_u32 v50, s96, v50                                 // 000000002E9C: D2860032 00026460
	v_mul_lo_u32 v51, v50, s97                                 // 000000002EA4: D2850033 0000C332
	v_sub_u32_e32 v53, s96, v51                                // 000000002EAC: 6A6A6660
	v_add_u32_e32 v52, 1, v50                                  // 000000002EB0: 68686481
	v_cmp_le_u32_e32 vcc, s97, v53                             // 000000002EB4: 7D966A61
	v_subrev_u32_e32 v51, s97, v53                             // 000000002EB8: 6C666A61
	s_nop 0                                                    // 000000002EBC: BF800000
	v_cndmask_b32_e32 v50, v50, v52, vcc                       // 000000002EC0: 00646932
	v_cndmask_b32_e32 v53, v53, v51, vcc                       // 000000002EC4: 006A6735
	v_add_u32_e32 v51, 1, v50                                  // 000000002EC8: 68666481
	v_cmp_le_u32_e32 vcc, s97, v53                             // 000000002ECC: 7D966A61
	s_nop 1                                                    // 000000002ED0: BF800001
	v_cndmask_b32_e32 v53, v50, v51, vcc                       // 000000002ED4: 006A6732
	s_nop 3                                                    // 000000002ED8: BF800003
	v_readfirstlane_b32 s98, v53                               // 000000002EDC: 7EC40535
	s_nop 3                                                    // 000000002EE0: BF800003

0000000000002ee4 <label_0039>:
	s_mov_b32 s4, 0                                            // 000000002EE4: BE840080
	v_cvt_f32_u32_e32 v50, s97                                 // 000000002EE8: 7E640C61
	s_sub_i32 s60, 0, s97                                      // 000000002EEC: 81BC6180
	v_rcp_iflag_f32_e32 v50, v50                               // 000000002EF0: 7E644732
	s_nop 0                                                    // 000000002EF4: BF800000
	v_mul_f32_e32 v50, 0x4f7ffffe, v50                         // 000000002EF8: 0A6464FF 4F7FFFFE
	v_cvt_u32_f32_e32 v50, v50                                 // 000000002F00: 7E640F32
	v_mul_lo_u32 v51, s60, v50                                 // 000000002F04: D2850033 0002643C
	v_mul_hi_u32 v51, v50, v51                                 // 000000002F0C: D2860033 00026732
	v_add_u32_e32 v50, v50, v51                                // 000000002F14: 68646732
	v_mul_hi_u32 v50, s99, v50                                 // 000000002F18: D2860032 00026463
	v_mul_lo_u32 v51, v50, s97                                 // 000000002F20: D2850033 0000C332
	v_sub_u32_e32 v53, s99, v51                                // 000000002F28: 6A6A6663
	v_add_u32_e32 v52, 1, v50                                  // 000000002F2C: 68686481
	v_cmp_le_u32_e32 vcc, s97, v53                             // 000000002F30: 7D966A61
	v_subrev_u32_e32 v51, s97, v53                             // 000000002F34: 6C666A61
	s_nop 0                                                    // 000000002F38: BF800000
	v_cndmask_b32_e32 v50, v50, v52, vcc                       // 000000002F3C: 00646932
	v_cndmask_b32_e32 v53, v53, v51, vcc                       // 000000002F40: 006A6735
	v_add_u32_e32 v51, 1, v50                                  // 000000002F44: 68666481
	v_cmp_le_u32_e32 vcc, s97, v53                             // 000000002F48: 7D966A61
	s_nop 1                                                    // 000000002F4C: BF800001
	v_cndmask_b32_e32 v53, v50, v51, vcc                       // 000000002F50: 006A6732
	s_nop 3                                                    // 000000002F54: BF800003
	v_readfirstlane_b32 s3, v53                                // 000000002F58: 7E060535
	s_nop 3                                                    // 000000002F5C: BF800003
	s_mul_i32 s60, s3, s97                                     // 000000002F60: 923C6103
	s_sub_u32 s2, s99, s60                                     // 000000002F64: 80823C63
	s_mul_i32 s60, s98, s100                                   // 000000002F68: 923C6462
	s_add_i32 s3, s3, s60                                      // 000000002F6C: 81033C03

0000000000002f70 <label_005C>:
	s_and_b32 s1, s1, 0xffff                                   // 000000002F70: 8601FF01 0000FFFF
	s_load_dwordx2 s[8:9], s[0:1], 0x0                         // 000000002F78: C0060200 00000000
	s_load_dwordx2 s[20:21], s[0:1], 0x10                      // 000000002F80: C0060500 00000010
	s_load_dwordx2 s[24:25], s[0:1], 0x20                      // 000000002F88: C0060600 00000020
	s_load_dwordx2 s[50:51], s[0:1], 0x30                      // 000000002F90: C0060C80 00000030
	s_load_dwordx2 s[12:13], s[0:1], 0x40                      // 000000002F98: C0060300 00000040
	s_load_dwordx2 s[28:29], s[0:1], 0x50                      // 000000002FA0: C0060700 00000050
	s_load_dwordx2 s[32:33], s[0:1], 0x60                      // 000000002FA8: C0060800 00000060
	s_load_dwordx2 s[16:17], s[0:1], 0x70                      // 000000002FB0: C0060400 00000070
	s_load_dwordx2 s[36:37], s[0:1], 0x80                      // 000000002FB8: C0060900 00000080
	s_load_dwordx2 s[44:45], s[0:1], 0x90                      // 000000002FC0: C0060B00 00000090
	s_load_dwordx2 s[40:41], s[0:1], 0xa0                      // 000000002FC8: C0060A00 000000A0
	s_load_dwordx2 s[46:47], s[0:1], 0xb0                      // 000000002FD0: C0060B80 000000B0
	s_load_dword s64, s[0:1], 0xc0                             // 000000002FD8: C0021000 000000C0
	s_load_dword s65, s[0:1], 0xd0                             // 000000002FE0: C0021040 000000D0
	s_load_dword s67, s[0:1], 0xf0                             // 000000002FE8: C00210C0 000000F0
	s_load_dword s68, s[0:1], 0x100                            // 000000002FF0: C0021100 00000100
	s_load_dword s69, s[0:1], 0x110                            // 000000002FF8: C0021140 00000110
	s_load_dword s70, s[0:1], 0x120                            // 000000003000: C0021180 00000120
	s_load_dword s71, s[0:1], 0x130                            // 000000003008: C00211C0 00000130
	s_load_dword s72, s[0:1], 0x140                            // 000000003010: C0021200 00000140
	s_load_dword s73, s[0:1], 0x150                            // 000000003018: C0021240 00000150
	s_load_dword s74, s[0:1], 0x160                            // 000000003020: C0021280 00000160
	s_load_dword s75, s[0:1], 0x170                            // 000000003028: C00212C0 00000170
	s_load_dword s76, s[0:1], 0x180                            // 000000003030: C0021300 00000180
	s_mov_b32 s2, s2                                           // 000000003038: BE820002
	s_mov_b32 s3, s3                                           // 00000000303C: BE830003
	s_mov_b32 s4, s4                                           // 000000003040: BE840004
	s_waitcnt lgkmcnt(0)                                       // 000000003044: BF8CC07F
	s_and_b32 s51, s51, 0xffff                                 // 000000003048: 8633FF33 0000FFFF
	s_load_dword s66, s[50:51], 0x4                            // 000000003050: C0021099 00000004
	s_load_dword s50, s[50:51], 0x0                            // 000000003058: C0020C99 00000000
	s_waitcnt lgkmcnt(0)                                       // 000000003060: BF8CC07F
	s_and_b32 s45, s45, 0xffff                                 // 000000003064: 862DFF2D 0000FFFF
	s_and_b32 s47, s47, 0xffff                                 // 00000000306C: 862FFF2F 0000FFFF
	s_and_b32 s9, s9, 0xffff                                   // 000000003074: 8609FF09 0000FFFF
	s_mul_i32 s60, s66, s68                                    // 00000000307C: 923C4442
	s_mul_i32 s61, s66, 4                                      // 000000003080: 923D8442
	s_mov_b32 s22, s60                                         // 000000003084: BE96003C
	s_mov_b32 s26, -16                                         // 000000003088: BE9A00D0
	s_mov_b32 s14, -16                                         // 00000000308C: BE8E00D0
	s_mov_b32 s42, -16                                         // 000000003090: BEAA00D0
	s_mov_b32 s30, s61                                         // 000000003094: BE9E003D
	s_mov_b32 s34, 0x500                                       // 000000003098: BEA200FF 00000500
	s_mov_b32 s38, 0x500                                       // 0000000030A0: BEA600FF 00000500
	s_mov_b32 s18, -16                                         // 0000000030A8: BE9200D0
	s_mov_b32 s23, 0x20000                                     // 0000000030AC: BE9700FF 00020000
	s_mov_b32 s27, 0x20000                                     // 0000000030B4: BE9B00FF 00020000
	s_mov_b32 s15, 0x20000                                     // 0000000030BC: BE8F00FF 00020000
	s_mov_b32 s43, 0x20000                                     // 0000000030C4: BEAB00FF 00020000
	s_mov_b32 s31, 0x20000                                     // 0000000030CC: BE9F00FF 00020000
	s_mov_b32 s35, 0x20000                                     // 0000000030D4: BEA300FF 00020000
	s_mov_b32 s39, 0x20000                                     // 0000000030DC: BEA700FF 00020000
	s_mov_b32 s19, 0x20000                                     // 0000000030E4: BE9300FF 00020000
	s_and_b32 s21, s21, 0xffff                                 // 0000000030EC: 8615FF15 0000FFFF
	s_and_b32 s25, s25, 0xffff                                 // 0000000030F4: 8619FF19 0000FFFF
	s_and_b32 s13, s13, 0xffff                                 // 0000000030FC: 860DFF0D 0000FFFF
	s_and_b32 s41, s41, 0xffff                                 // 000000003104: 8629FF29 0000FFFF
	s_and_b32 s29, s29, 0xffff                                 // 00000000310C: 861DFF1D 0000FFFF
	s_and_b32 s33, s33, 0xffff                                 // 000000003114: 8621FF21 0000FFFF
	s_and_b32 s37, s37, 0xffff                                 // 00000000311C: 8625FF25 0000FFFF
	s_and_b32 s17, s17, 0xffff                                 // 000000003124: 8611FF11 0000FFFF
	s_or_b32 s21, s21, 0x40000                                 // 00000000312C: 8715FF15 00040000
	s_or_b32 s25, s25, 0x40000                                 // 000000003134: 8719FF19 00040000
	s_or_b32 s13, s13, 0x40000                                 // 00000000313C: 870DFF0D 00040000
	s_or_b32 s41, s41, 0x40000                                 // 000000003144: 8729FF29 00040000
	s_or_b32 s29, s29, 0x40000                                 // 00000000314C: 871DFF1D 00040000
	s_or_b32 s33, s33, 0x40000                                 // 000000003154: 8721FF21 00040000
	s_or_b32 s37, s37, 0x40000                                 // 00000000315C: 8725FF25 00040000
	s_or_b32 s17, s17, 0x40000                                 // 000000003164: 8711FF11 00040000
	v_accvgpr_write_b32 a159, 0                                // 00000000316C: D3D9409F 18000080
	v_mov_b32_e32 v231, 0                                      // 000000003174: 7FCE0280
	s_waitcnt lgkmcnt(0)                                       // 000000003178: BF8CC07F
	s_mul_i32 s60, s3, 32                                      // 00000000317C: 923CA003
	s_cmp_lt_i32 s60, s50                                      // 000000003180: BF04323C
	s_cbranch_scc0 label_1988                                  // 000000003184: BF8418A6
	s_mov_b32 s80, 0                                           // 000000003188: BED00080
	s_mov_b32 s81, s64                                         // 00000000318C: BED10040
	s_mul_i32 s60, s3, 4                                       // 000000003190: 923C8403
	s_add_u32 s46, s60, s46                                    // 000000003194: 802E2E3C
	s_addc_u32 s47, 0, s47                                     // 000000003198: 822F2F80
	s_load_dword s5, s[46:47], 0x0                             // 00000000319C: C0020157 00000000
	s_mul_i32 s60, s3, 32                                      // 0000000031A4: 923CA003
	s_mul_i32 s60, 4, s60                                      // 0000000031A8: 923C3C84
	v_and_b32_e32 v50, 15, v0                                  // 0000000031AC: 2664008F
	v_lshlrev_b32_e32 v50, 2, v50                              // 0000000031B0: 24646482
	v_add_u32_e32 v50, s60, v50                                // 0000000031B4: 6864643C
	v_mov_b32_e32 v51, 0                                       // 0000000031B8: 7E660280
	global_load_dword v6, v50, s[44:45]                        // 0000000031BC: DC508000 062C0032
	v_add_u32_e32 v50, 64, v50                                 // 0000000031C4: 686464C0
	global_load_dword v7, v50, s[44:45]                        // 0000000031C8: DC508000 072C0032
	s_mul_i32 s60, s3, 32                                      // 0000000031D0: 923CA003
	s_add_u32 s60, s7, s60                                     // 0000000031D4: 803C3C07
	s_mul_i32 s60, 4, s60                                      // 0000000031D8: 923C3C84
	s_add_u32 s44, s60, s44                                    // 0000000031DC: 802C2C3C
	s_addc_u32 s45, 0, s45                                     // 0000000031E0: 822D2D80
	s_load_dword s82, s[44:45], 0x0                            // 0000000031E4: C0021496 00000000
	s_load_dword s83, s[44:45], 0x10                           // 0000000031EC: C00214D6 00000010
	s_load_dword s84, s[44:45], 0x20                           // 0000000031F4: C0021516 00000020
	s_load_dword s85, s[44:45], 0x30                           // 0000000031FC: C0021556 00000030
	s_load_dword s86, s[44:45], 0x40                           // 000000003204: C0021596 00000040
	s_load_dword s87, s[44:45], 0x50                           // 00000000320C: C00215D6 00000050
	s_load_dword s88, s[44:45], 0x60                           // 000000003214: C0021616 00000060
	s_load_dword s89, s[44:45], 0x70                           // 00000000321C: C0021656 00000070
	s_waitcnt lgkmcnt(0)                                       // 000000003224: BF8CC07F
	v_lshlrev_b32_e32 v50, 2, v0                               // 000000003228: 24640082
	s_and_b32 s82, s82, 0xffffff                               // 00000000322C: 8652FF52 00FFFFFF
	s_mul_i32 s60, s82, s68                                    // 000000003234: 923C4452
	v_add_u32_e64 v26, v50, s60                                // 000000003238: D134001A 00007932
	s_and_b32 s83, s83, 0xffffff                               // 000000003240: 8653FF53 00FFFFFF
	s_mul_i32 s60, s83, s68                                    // 000000003248: 923C4453
	v_add_u32_e64 v27, v50, s60                                // 00000000324C: D134001B 00007932
	s_and_b32 s84, s84, 0xffffff                               // 000000003254: 8654FF54 00FFFFFF
	s_mul_i32 s60, s84, s68                                    // 00000000325C: 923C4454
	v_add_u32_e64 v28, v50, s60                                // 000000003260: D134001C 00007932
	s_and_b32 s85, s85, 0xffffff                               // 000000003268: 8655FF55 00FFFFFF
	s_mul_i32 s60, s85, s68                                    // 000000003270: 923C4455
	v_add_u32_e64 v29, v50, s60                                // 000000003274: D134001D 00007932
	s_and_b32 s86, s86, 0xffffff                               // 00000000327C: 8656FF56 00FFFFFF
	s_mul_i32 s60, s86, s68                                    // 000000003284: 923C4456
	v_add_u32_e64 v30, v50, s60                                // 000000003288: D134001E 00007932
	s_and_b32 s87, s87, 0xffffff                               // 000000003290: 8657FF57 00FFFFFF
	s_mul_i32 s60, s87, s68                                    // 000000003298: 923C4457
	v_add_u32_e64 v31, v50, s60                                // 00000000329C: D134001F 00007932
	s_and_b32 s88, s88, 0xffffff                               // 0000000032A4: 8658FF58 00FFFFFF
	s_mul_i32 s60, s88, s68                                    // 0000000032AC: 923C4458
	v_add_u32_e64 v32, v50, s60                                // 0000000032B0: D1340020 00007932
	s_and_b32 s89, s89, 0xffffff                               // 0000000032B8: 8659FF59 00FFFFFF
	s_mul_i32 s60, s89, s68                                    // 0000000032C0: 923C4459
	v_add_u32_e64 v33, v50, s60                                // 0000000032C4: D1340021 00007932
	v_lshlrev_b32_e32 v50, 2, v0                               // 0000000032CC: 24640082
	s_mul_i32 s60, s82, s71                                    // 0000000032D0: 923C4752
	v_add_u32_e64 v80, v50, s60                                // 0000000032D4: D1340050 00007932
	v_mov_b32_e32 v81, 0                                       // 0000000032DC: 7EA20280
	s_mul_i32 s60, s83, s71                                    // 0000000032E0: 923C4753
	v_add_u32_e64 v82, v50, s60                                // 0000000032E4: D1340052 00007932
	v_mov_b32_e32 v83, 0                                       // 0000000032EC: 7EA60280
	s_mul_i32 s60, s84, s71                                    // 0000000032F0: 923C4754
	v_add_u32_e64 v84, v50, s60                                // 0000000032F4: D1340054 00007932
	v_mov_b32_e32 v85, 0                                       // 0000000032FC: 7EAA0280
	s_mul_i32 s60, s85, s71                                    // 000000003300: 923C4755
	v_add_u32_e64 v86, v50, s60                                // 000000003304: D1340056 00007932
	v_mov_b32_e32 v87, 0                                       // 00000000330C: 7EAE0280
	s_mul_i32 s60, s86, s71                                    // 000000003310: 923C4756
	v_add_u32_e64 v88, v50, s60                                // 000000003314: D1340058 00007932
	v_mov_b32_e32 v89, 0                                       // 00000000331C: 7EB20280
	s_mul_i32 s60, s87, s71                                    // 000000003320: 923C4757
	v_add_u32_e64 v90, v50, s60                                // 000000003324: D134005A 00007932
	v_mov_b32_e32 v91, 0                                       // 00000000332C: 7EB60280
	s_mul_i32 s60, s88, s71                                    // 000000003330: 923C4758
	v_add_u32_e64 v92, v50, s60                                // 000000003334: D134005C 00007932
	v_mov_b32_e32 v93, 0                                       // 00000000333C: 7EBA0280
	s_mul_i32 s60, s89, s71                                    // 000000003340: 923C4759
	v_add_u32_e64 v94, v50, s60                                // 000000003344: D134005E 00007932
	v_mov_b32_e32 v95, 0                                       // 00000000334C: 7EBE0280
	s_mul_i32 s60, s7, 0x820                                   // 000000003350: 923CFF07 00000820
	s_add_u32 s50, 0, s60                                      // 000000003358: 80323C80
	s_add_u32 s51, 0x2080, s50                                 // 00000000335C: 803332FF 00002080
	v_lshrrev_b32_e32 v50, 4, v0                               // 000000003364: 20640084
	v_lshlrev_b32_e32 v51, 2, v50                              // 000000003368: 24666482
	v_and_b32_e32 v50, 15, v0                                  // 00000000336C: 2664008F
	v_lshrrev_b32_e32 v52, 2, v50                              // 000000003370: 20686482
	v_lshlrev_b32_e32 v52, 6, v52                              // 000000003374: 24686886
	v_add_u32_e32 v51, v52, v51                                // 000000003378: 68666734
	v_and_b32_e32 v50, 3, v0                                   // 00000000337C: 26640083
	v_mul_i32_i24_e32 v52, 0x208, v50                          // 000000003380: 0C6864FF 00000208
	v_add_u32_e32 v51, v52, v51                                // 000000003388: 68666734
	v_lshlrev_b32_e32 v2, 2, v51                               // 00000000338C: 24046682
	s_mul_i32 s60, s2, 0x140                                   // 000000003390: 923CFF02 00000140
	s_mul_i32 s60, s60, s69                                    // 000000003398: 923C453C
	s_mul_i32 s61, s5, s72                                     // 00000000339C: 923D4805
	s_add_u32 s60, s61, s60                                    // 0000000033A0: 803C3C3D
	s_add_u32 s24, s60, s24                                    // 0000000033A4: 8018183C
	s_addc_u32 s25, 0, s25                                     // 0000000033A8: 82191980
	s_mul_i32 s60, s7, 16                                      // 0000000033AC: 923C9007
	s_mul_i32 s60, s60, s69                                    // 0000000033B0: 923C453C
	v_lshlrev_b32_e32 v34, 4, v0                               // 0000000033B4: 24440084
	v_add_u32_e32 v34, s60, v34                                // 0000000033B8: 6844443C
	s_mul_i32 s60, 64, s69                                     // 0000000033BC: 923C45C0
	v_add_u32_e32 v35, s60, v34                                // 0000000033C0: 6846443C
	v_add_u32_e32 v36, s60, v35                                // 0000000033C4: 6848463C
	v_add_u32_e32 v37, s60, v36                                // 0000000033C8: 684A483C
	v_add_u32_e32 v38, s60, v37                                // 0000000033CC: 684C4A3C
	s_mov_b32 s92, s24                                         // 0000000033D0: BEDC0018
	s_mov_b32 s93, s25                                         // 0000000033D4: BEDD0019
	s_mov_b32 s94, s26                                         // 0000000033D8: BEDE001A
	s_mov_b32 s95, s27                                         // 0000000033DC: BEDF001B
	s_mul_i32 s60, s69, s65                                    // 0000000033E0: 923C4145
	s_add_u32 s92, s60, s92                                    // 0000000033E4: 805C5C3C
	s_addc_u32 s93, 0, s93                                     // 0000000033E8: 825D5D80
	s_mul_i32 s60, s2, 0x1400                                  // 0000000033EC: 923CFF02 00001400
	s_mul_i32 s61, s5, s73                                     // 0000000033F4: 923D4905
	s_add_u32 s60, s61, s60                                    // 0000000033F8: 803C3C3D
	s_add_u32 s12, s60, s12                                    // 0000000033FC: 800C0C3C
	s_addc_u32 s13, 0, s13                                     // 000000003400: 820D0D80
	s_mul_i32 s60, s7, 16                                      // 000000003404: 923C9007
	s_mul_i32 s60, s60, s70                                    // 000000003408: 923C463C
	v_lshlrev_b32_e32 v39, 4, v0                               // 00000000340C: 244E0084
	v_add_u32_e32 v39, s60, v39                                // 000000003410: 684E4E3C
	s_mul_i32 s60, 64, s70                                     // 000000003414: 923C46C0
	v_add_u32_e32 v40, s60, v39                                // 000000003418: 68504E3C
	v_add_u32_e32 v41, s60, v40                                // 00000000341C: 6852503C
	v_add_u32_e32 v42, s60, v41                                // 000000003420: 6854523C
	s_mul_i32 s60, s70, 0x100                                  // 000000003424: 923CFF46 00000100
	s_mov_b32 s78, 0x400                                       // 00000000342C: BECE00FF 00000400
	s_mul_i32 s61, s78, 4                                      // 000000003434: 923D844E
	s_sub_u32 s56, s60, s61                                    // 000000003438: 80B83D3C
	s_mul_i32 s60, s3, 32                                      // 00000000343C: 923CA003
	s_mul_i32 s60, 4, s60                                      // 000000003440: 923C3C84
	s_add_u32 s40, s60, s40                                    // 000000003444: 8028283C
	s_addc_u32 s41, 0, s41                                     // 000000003448: 82292980
	v_and_b32_e32 v50, 15, v0                                  // 00000000344C: 2664008F
	v_lshlrev_b32_e32 v8, 2, v50                               // 000000003450: 24106482
	v_add_u32_e32 v9, 64, v8                                   // 000000003454: 681210C0
	v_lshrrev_b32_e32 v50, 4, v0                               // 000000003458: 20640084
	v_lshlrev_b32_e32 v51, 2, v50                              // 00000000345C: 24666482
	v_and_b32_e32 v50, 15, v0                                  // 000000003460: 2664008F
	v_lshrrev_b32_e32 v52, 2, v50                              // 000000003464: 20686482
	v_lshlrev_b32_e32 v52, 6, v52                              // 000000003468: 24686886
	v_add_u32_e32 v51, v52, v51                                // 00000000346C: 68666734
	v_and_b32_e32 v50, 3, v0                                   // 000000003470: 26640083
	v_add_u32_e32 v51, v50, v51                                // 000000003474: 68666732
	v_lshlrev_b32_e32 v10, 2, v51                              // 000000003478: 24146682
	v_add_u32_e32 v11, 0x400, v10                              // 00000000347C: 681614FF 00000400
	s_mul_i32 s60, s7, 16                                      // 000000003484: 923C9007
	s_mul_i32 s60, s60, 4                                      // 000000003488: 923C843C
	v_add_u32_e32 v10, s60, v10                                // 00000000348C: 6814143C
	v_add_u32_e32 v11, s60, v11                                // 000000003490: 6816163C
	v_mov_b32_e32 v5, v10                                      // 000000003494: 7E0A030A
	s_mul_i32 s60, s2, 0x140                                   // 000000003498: 923CFF02 00000140
	s_mul_i32 s60, s60, 4                                      // 0000000034A0: 923C843C
	s_mul_i32 s61, s5, s74                                     // 0000000034A4: 923D4A05
	s_add_u32 s61, s61, s60                                    // 0000000034A8: 803D3C3D
	s_mul_i32 s62, s5, s76                                     // 0000000034AC: 923E4C05
	s_add_u32 s62, s62, s60                                    // 0000000034B0: 803E3C3E
	s_add_u32 s32, s61, s32                                    // 0000000034B4: 8020203D
	s_addc_u32 s33, 0, s33                                     // 0000000034B8: 82212180
	s_add_u32 s36, s62, s36                                    // 0000000034BC: 8024243E
	s_addc_u32 s37, 0, s37                                     // 0000000034C0: 82252580
	s_mul_i32 s60, s5, s75                                     // 0000000034C4: 923C4B05
	s_add_u32 s16, s60, s16                                    // 0000000034C8: 8010103C
	s_addc_u32 s17, 0, s17                                     // 0000000034CC: 82111180
	s_mov_b32 s57, 0x100                                       // 0000000034D0: BEB900FF 00000100
	s_mov_b32 s58, 0x1000                                      // 0000000034D8: BEBA00FF 00001000
	s_mov_b32 s79, 0x400                                       // 0000000034E0: BECF00FF 00000400
	s_mov_b32 s59, 0x200                                       // 0000000034E8: BEBB00FF 00000200
	s_mov_b32 s90, s58                                         // 0000000034F0: BEDA003A
	s_mov_b32 s52, 0x7060302                                   // 0000000034F4: BEB400FF 07060302
	s_mov_b32 s53, 0x400                                       // 0000000034FC: BEB500FF 00000400
	s_mov_b32 s54, 0x40100                                     // 000000003504: BEB600FF 00040100
	s_mov_b32 s55, 0x4020100                                   // 00000000350C: BEB700FF 04020100
	s_mov_b32 s6, 0x3fb8aa3b                                   // 000000003514: BE8600FF 3FB8AA3B
	s_mov_b32 s77, 0xbd92220c                                  // 00000000351C: BECD00FF BD92220C
	s_mov_b32 m0, s50                                          // 000000003524: BEFC0032
	v_mov_b32_e32 v1, 0xbfcc4231                               // 000000003528: 7E0202FF BFCC4231
	v_mov_b32_e32 v44, 0xffff0000                              // 000000003530: 7E5802FF FFFF0000
	v_mov_b32_e32 v45, 0x7fff0000                              // 000000003538: 7E5A02FF 7FFF0000
	v_mov_b32_e32 v46, 0x7fff                                  // 000000003540: 7E5C02FF 00007FFF
	s_waitcnt vmcnt(0) expcnt(0) lgkmcnt(0)                    // 000000003548: BF8C0000
	v_and_b32_e32 v6, 0xffffff, v6                             // 00000000354C: 260C0CFF 00FFFFFF
	v_and_b32_e32 v7, 0xffffff, v7                             // 000000003554: 260E0EFF 00FFFFFF
	v_lshlrev_b32_e32 v6, 2, v6                                // 00000000355C: 240C0C82
	v_lshlrev_b32_e32 v7, 2, v7                                // 000000003560: 240E0E82
	buffer_load_dword v14, v6, s[28:31], 0 offen               // 000000003564: E0501000 80070E06
	buffer_load_dword v15, v7, s[28:31], 0 offen               // 00000000356C: E0501000 80070F07
	buffer_load_dword v16, v10, s[32:35], 0 offen              // 000000003574: E0501000 8008100A
	buffer_load_dword v17, v11, s[32:35], 0 offen              // 00000000357C: E0501000 8008110B
	s_mul_i32 s60, 4, s65                                      // 000000003584: 923C4184
	s_add_u32 s32, s60, s32                                    // 000000003588: 8020203C
	s_addc_u32 s33, 0, s33                                     // 00000000358C: 82212180
	buffer_load_dword v47, v10, s[32:35], 0 offen              // 000000003590: E0501000 80082F0A
	buffer_load_dword v48, v11, s[32:35], 0 offen              // 000000003598: E0501000 8008300B
	buffer_load_dword v20, v8, s[40:43], 0 offen               // 0000000035A0: E0501000 800A1408
	buffer_load_dword v21, v9, s[40:43], 0 offen               // 0000000035A8: E0501000 800A1509
	buffer_load_dword v26, s[20:23], 0 offen lds               // 0000000035B0: E0511000 8005001A
	s_add_u32 m0, 0x100, s50                                   // 0000000035B8: 807C32FF 00000100
	buffer_load_dword v27, s[20:23], 0 offen lds               // 0000000035C0: E0511000 8005001B
	s_add_u32 m0, 0x200, s50                                   // 0000000035C8: 807C32FF 00000200
	buffer_load_dword v28, s[20:23], 0 offen lds               // 0000000035D0: E0511000 8005001C
	s_add_u32 m0, 0x300, s50                                   // 0000000035D8: 807C32FF 00000300
	buffer_load_dword v29, s[20:23], 0 offen lds               // 0000000035E0: E0511000 8005001D
	s_add_u32 m0, 0x400, s50                                   // 0000000035E8: 807C32FF 00000400
	buffer_load_dword v30, s[20:23], 0 offen lds               // 0000000035F0: E0511000 8005001E
	s_add_u32 m0, 0x500, s50                                   // 0000000035F8: 807C32FF 00000500
	buffer_load_dword v31, s[20:23], 0 offen lds               // 000000003600: E0511000 8005001F
	s_add_u32 m0, 0x600, s50                                   // 000000003608: 807C32FF 00000600
	buffer_load_dword v32, s[20:23], 0 offen lds               // 000000003610: E0511000 80050020
	s_add_u32 m0, 0x700, s50                                   // 000000003618: 807C32FF 00000700
	buffer_load_dword v33, s[20:23], 0 offen lds               // 000000003620: E0511000 80050021
	s_add_u32 m0, 0, s51                                       // 000000003628: 807C3380
	s_add_u32 s20, s57, s20                                    // 00000000362C: 80141439
	s_addc_u32 s21, 0, s21                                     // 000000003630: 82151580
	buffer_load_dwordx4 a[0:3], v34, s[24:27], 0 offen         // 000000003634: E05C1000 80860022
	buffer_load_dwordx4 a[4:7], v34, s[24:27], 0 offen offset:1024// 00000000363C: E05C1400 80860422
	buffer_load_dwordx4 a[8:11], v34, s[24:27], 0 offen offset:2048// 000000003644: E05C1800 80860822
	buffer_load_dwordx4 a[12:15], v34, s[24:27], 0 offen offset:3072// 00000000364C: E05C1C00 80860C22
	buffer_load_dwordx4 a[16:19], v35, s[24:27], 0 offen       // 000000003654: E05C1000 80861023
	buffer_load_dwordx4 a[20:23], v35, s[24:27], 0 offen offset:1024// 00000000365C: E05C1400 80861423
	buffer_load_dwordx4 a[24:27], v35, s[24:27], 0 offen offset:2048// 000000003664: E05C1800 80861823
	buffer_load_dwordx4 a[28:31], v35, s[24:27], 0 offen offset:3072// 00000000366C: E05C1C00 80861C23
	buffer_load_dwordx4 a[32:35], v36, s[24:27], 0 offen       // 000000003674: E05C1000 80862024
	buffer_load_dwordx4 a[36:39], v36, s[24:27], 0 offen offset:1024// 00000000367C: E05C1400 80862424
	buffer_load_dwordx4 a[40:43], v36, s[24:27], 0 offen offset:2048// 000000003684: E05C1800 80862824
	buffer_load_dwordx4 a[44:47], v36, s[24:27], 0 offen offset:3072// 00000000368C: E05C1C00 80862C24
	buffer_load_dwordx4 a[48:51], v37, s[24:27], 0 offen       // 000000003694: E05C1000 80863025
	buffer_load_dwordx4 a[52:55], v37, s[24:27], 0 offen offset:1024// 00000000369C: E05C1400 80863425
	buffer_load_dwordx4 a[56:59], v37, s[24:27], 0 offen offset:2048// 0000000036A4: E05C1800 80863825
	buffer_load_dwordx4 a[60:63], v37, s[24:27], 0 offen offset:3072// 0000000036AC: E05C1C00 80863C25
	buffer_load_dwordx4 a[64:67], v38, s[24:27], 0 offen       // 0000000036B4: E05C1000 80864026
	buffer_load_dwordx4 a[68:71], v38, s[24:27], 0 offen offset:1024// 0000000036BC: E05C1400 80864426
	buffer_load_dwordx4 a[72:75], v38, s[24:27], 0 offen offset:2048// 0000000036C4: E05C1800 80864826
	buffer_load_dwordx4 a[76:79], v38, s[24:27], 0 offen offset:3072// 0000000036CC: E05C1C00 80864C26
	s_add_u32 s24, s58, s24                                    // 0000000036D4: 8018183A
	s_addc_u32 s25, 0, s25                                     // 0000000036D8: 82191980
	v_mov_b32_e32 v128, 0                                      // 0000000036DC: 7F000280
	v_mov_b32_e32 v64, 0                                       // 0000000036E0: 7E800280
	v_mov_b32_e32 v129, 0                                      // 0000000036E4: 7F020280
	v_mov_b32_e32 v65, 0                                       // 0000000036E8: 7E820280
	v_mov_b32_e32 v130, 0                                      // 0000000036EC: 7F040280
	v_mov_b32_e32 v66, 0                                       // 0000000036F0: 7E840280
	v_mov_b32_e32 v131, 0                                      // 0000000036F4: 7F060280
	v_mov_b32_e32 v67, 0                                       // 0000000036F8: 7E860280
	v_mov_b32_e32 v132, 0                                      // 0000000036FC: 7F080280
	v_mov_b32_e32 v68, 0                                       // 000000003700: 7E880280
	v_mov_b32_e32 v133, 0                                      // 000000003704: 7F0A0280
	v_mov_b32_e32 v69, 0                                       // 000000003708: 7E8A0280
	v_mov_b32_e32 v134, 0                                      // 00000000370C: 7F0C0280
	v_mov_b32_e32 v70, 0                                       // 000000003710: 7E8C0280
	v_mov_b32_e32 v135, 0                                      // 000000003714: 7F0E0280
	v_mov_b32_e32 v71, 0                                       // 000000003718: 7E8E0280
	v_mov_b32_e32 v136, 0                                      // 00000000371C: 7F100280
	v_mov_b32_e32 v72, 0                                       // 000000003720: 7E900280
	v_mov_b32_e32 v137, 0                                      // 000000003724: 7F120280
	v_mov_b32_e32 v73, 0                                       // 000000003728: 7E920280
	v_mov_b32_e32 v138, 0                                      // 00000000372C: 7F140280
	v_mov_b32_e32 v74, 0                                       // 000000003730: 7E940280
	v_mov_b32_e32 v139, 0                                      // 000000003734: 7F160280
	v_mov_b32_e32 v75, 0                                       // 000000003738: 7E960280
	v_mov_b32_e32 v140, 0                                      // 00000000373C: 7F180280
	v_mov_b32_e32 v76, 0                                       // 000000003740: 7E980280
	v_mov_b32_e32 v141, 0                                      // 000000003744: 7F1A0280
	v_mov_b32_e32 v77, 0                                       // 000000003748: 7E9A0280
	v_mov_b32_e32 v142, 0                                      // 00000000374C: 7F1C0280
	v_mov_b32_e32 v78, 0                                       // 000000003750: 7E9C0280
	v_mov_b32_e32 v143, 0                                      // 000000003754: 7F1E0280
	v_mov_b32_e32 v79, 0                                       // 000000003758: 7E9E0280
	v_mov_b32_e32 v144, 0                                      // 00000000375C: 7F200280
	v_mov_b32_e32 v80, 0                                       // 000000003760: 7EA00280
	v_mov_b32_e32 v145, 0                                      // 000000003764: 7F220280
	v_mov_b32_e32 v81, 0                                       // 000000003768: 7EA20280
	v_mov_b32_e32 v146, 0                                      // 00000000376C: 7F240280
	v_mov_b32_e32 v82, 0                                       // 000000003770: 7EA40280
	v_mov_b32_e32 v147, 0                                      // 000000003774: 7F260280
	v_mov_b32_e32 v83, 0                                       // 000000003778: 7EA60280
	v_mov_b32_e32 v148, 0                                      // 00000000377C: 7F280280
	v_mov_b32_e32 v84, 0                                       // 000000003780: 7EA80280
	v_mov_b32_e32 v149, 0                                      // 000000003784: 7F2A0280
	v_mov_b32_e32 v85, 0                                       // 000000003788: 7EAA0280
	v_mov_b32_e32 v150, 0                                      // 00000000378C: 7F2C0280
	v_mov_b32_e32 v86, 0                                       // 000000003790: 7EAC0280
	v_mov_b32_e32 v151, 0                                      // 000000003794: 7F2E0280
	v_mov_b32_e32 v87, 0                                       // 000000003798: 7EAE0280
	v_mov_b32_e32 v152, 0                                      // 00000000379C: 7F300280
	v_mov_b32_e32 v88, 0                                       // 0000000037A0: 7EB00280
	v_mov_b32_e32 v153, 0                                      // 0000000037A4: 7F320280
	v_mov_b32_e32 v89, 0                                       // 0000000037A8: 7EB20280
	v_mov_b32_e32 v154, 0                                      // 0000000037AC: 7F340280
	v_mov_b32_e32 v90, 0                                       // 0000000037B0: 7EB40280
	v_mov_b32_e32 v155, 0                                      // 0000000037B4: 7F360280
	v_mov_b32_e32 v91, 0                                       // 0000000037B8: 7EB60280
	v_mov_b32_e32 v156, 0                                      // 0000000037BC: 7F380280
	v_mov_b32_e32 v92, 0                                       // 0000000037C0: 7EB80280
	v_mov_b32_e32 v157, 0                                      // 0000000037C4: 7F3A0280
	v_mov_b32_e32 v93, 0                                       // 0000000037C8: 7EBA0280
	v_mov_b32_e32 v158, 0                                      // 0000000037CC: 7F3C0280
	v_mov_b32_e32 v94, 0                                       // 0000000037D0: 7EBC0280
	v_mov_b32_e32 v159, 0                                      // 0000000037D4: 7F3E0280
	v_mov_b32_e32 v95, 0                                       // 0000000037D8: 7EBE0280
	v_mov_b32_e32 v160, 0                                      // 0000000037DC: 7F400280
	v_mov_b32_e32 v96, 0                                       // 0000000037E0: 7EC00280
	v_mov_b32_e32 v161, 0                                      // 0000000037E4: 7F420280
	v_mov_b32_e32 v97, 0                                       // 0000000037E8: 7EC20280
	v_mov_b32_e32 v162, 0                                      // 0000000037EC: 7F440280
	v_mov_b32_e32 v98, 0                                       // 0000000037F0: 7EC40280
	v_mov_b32_e32 v163, 0                                      // 0000000037F4: 7F460280
	v_mov_b32_e32 v99, 0                                       // 0000000037F8: 7EC60280
	v_mov_b32_e32 v164, 0                                      // 0000000037FC: 7F480280
	v_mov_b32_e32 v100, 0                                      // 000000003800: 7EC80280
	v_mov_b32_e32 v165, 0                                      // 000000003804: 7F4A0280
	v_mov_b32_e32 v101, 0                                      // 000000003808: 7ECA0280
	v_mov_b32_e32 v166, 0                                      // 00000000380C: 7F4C0280
	v_mov_b32_e32 v102, 0                                      // 000000003810: 7ECC0280
	v_mov_b32_e32 v167, 0                                      // 000000003814: 7F4E0280
	v_mov_b32_e32 v103, 0                                      // 000000003818: 7ECE0280
	v_lshrrev_b32_e32 v50, 4, v0                               // 00000000381C: 20640084
	v_mul_i32_i24_e32 v3, 34, v50                              // 000000003820: 0C0664A2
	v_and_b32_e32 v50, 15, v0                                  // 000000003824: 2664008F
	v_mul_i32_i24_e32 v51, 2, v50                              // 000000003828: 0C666482
	v_add_u32_e32 v3, v51, v3                                  // 00000000382C: 68060733
	s_mul_i32 s60, s7, 0x88                                    // 000000003830: 923CFF07 00000088
	v_add_u32_e32 v3, s60, v3                                  // 000000003838: 6806063C
	v_lshlrev_b32_e32 v3, 2, v3                                // 00000000383C: 24060682
	v_lshrrev_b32_e32 v50, 1, v0                               // 000000003840: 20640081
	v_mul_i32_i24_e32 v4, 34, v50                              // 000000003844: 0C0864A2
	v_and_b32_e32 v51, 1, v0                                   // 000000003848: 26660081
	v_add_u32_e32 v4, v51, v4                                  // 00000000384C: 68080933
	s_mul_i32 s60, s7, 2                                       // 000000003850: 923C8207
	v_add_u32_e32 v4, s60, v4                                  // 000000003854: 6808083C
	v_lshlrev_b32_e32 v4, 2, v4                                // 000000003858: 24080882
	s_waitcnt vmcnt(20)                                        // 00000000385C: BF8C4F74
	s_barrier                                                  // 000000003860: BF8A0000
	ds_read_b128 v[168:171], v2                                // 000000003864: D9FE0000 A8000002
	ds_read_b128 v[172:175], v2 offset:64                      // 00000000386C: D9FE0040 AC000002
	ds_read_b128 v[176:179], v2 offset:128                     // 000000003874: D9FE0080 B0000002
	ds_read_b128 v[180:183], v2 offset:192                     // 00000000387C: D9FE00C0 B4000002
	ds_read_b128 v[184:187], v2 offset:1024                    // 000000003884: D9FE0400 B8000002
	ds_read_b128 v[188:191], v2 offset:1088                    // 00000000388C: D9FE0440 BC000002
	ds_read_b128 v[192:195], v2 offset:1152                    // 000000003894: D9FE0480 C0000002
	ds_read_b128 v[196:199], v2 offset:1216                    // 00000000389C: D9FE04C0 C4000002
	s_cmp_lt_i32 s7, 2                                         // 0000000038A4: BF048207
	s_cbranch_scc0 label_0E19                                  // 0000000038A8: BF840B6E

00000000000038ac <label_02AB>:
	s_waitcnt vmcnt(12) lgkmcnt(0)                             // 0000000038AC: BF8C007C
	s_barrier                                                  // 0000000038B0: BF8A0000
	v_mfma_f32_16x16x32_fp8_fp8 v[128:131], a[0:1], v[168:169], v[128:131]// 0000000038B4: D3F30080 0E035100
	v_mfma_f32_16x16x32_fp8_fp8 v[128:131], a[2:3], v[170:171], v[128:131]// 0000000038BC: D3F30080 0E035502
	buffer_load_dwordx4 a[80:83], v34, s[92:95], 0 offen       // 0000000038C4: E05C1000 80975022
	v_mfma_f32_16x16x32_fp8_fp8 v[128:131], a[4:5], v[172:173], v[128:131]// 0000000038CC: D3F30080 0E035904
	v_mfma_f32_16x16x32_fp8_fp8 v[128:131], a[6:7], v[174:175], v[128:131]// 0000000038D4: D3F30080 0E035D06
	buffer_load_dword v26, s[20:23], 0 offen lds               // 0000000038DC: E0511000 8005001A
	s_add_u32 m0, 0x100, s51                                   // 0000000038E4: 807C33FF 00000100
	v_mfma_f32_16x16x32_fp8_fp8 v[128:131], a[8:9], v[176:177], v[128:131]// 0000000038EC: D3F30080 0E036108
	v_mfma_f32_16x16x32_fp8_fp8 v[128:131], a[10:11], v[178:179], v[128:131]// 0000000038F4: D3F30080 0E03650A
	buffer_load_dwordx4 a[84:87], v34, s[92:95], 0 offen offset:1024// 0000000038FC: E05C1400 80975422
	v_mfma_f32_16x16x32_fp8_fp8 v[128:131], a[12:13], v[180:181], v[128:131]// 000000003904: D3F30080 0E03690C
	v_mfma_f32_16x16x32_fp8_fp8 v[128:131], a[14:15], v[182:183], v[128:131]// 00000000390C: D3F30080 0E036D0E
	buffer_load_dword v27, s[20:23], 0 offen lds               // 000000003914: E0511000 8005001B
	s_add_u32 m0, 0x200, s51                                   // 00000000391C: 807C33FF 00000200
	v_mfma_f32_16x16x32_fp8_fp8 v[132:135], a[0:1], v[184:185], v[132:135]// 000000003924: D3F30084 0E137100
	v_mfma_f32_16x16x32_fp8_fp8 v[132:135], a[2:3], v[186:187], v[132:135]// 00000000392C: D3F30084 0E137502
	buffer_load_dwordx4 a[88:91], v34, s[92:95], 0 offen offset:2048// 000000003934: E05C1800 80975822
	v_mfma_f32_16x16x32_fp8_fp8 v[132:135], a[4:5], v[188:189], v[132:135]// 00000000393C: D3F30084 0E137904
	v_mfma_f32_16x16x32_fp8_fp8 v[132:135], a[6:7], v[190:191], v[132:135]// 000000003944: D3F30084 0E137D06
	buffer_load_dword v28, s[20:23], 0 offen lds               // 00000000394C: E0511000 8005001C
	s_add_u32 m0, 0x300, s51                                   // 000000003954: 807C33FF 00000300
	v_mfma_f32_16x16x32_fp8_fp8 v[132:135], a[8:9], v[192:193], v[132:135]// 00000000395C: D3F30084 0E138108
	v_mfma_f32_16x16x32_fp8_fp8 v[132:135], a[10:11], v[194:195], v[132:135]// 000000003964: D3F30084 0E13850A
	buffer_load_dwordx4 a[92:95], v34, s[92:95], 0 offen offset:3072// 00000000396C: E05C1C00 80975C22
	v_mfma_f32_16x16x32_fp8_fp8 v[132:135], a[12:13], v[196:197], v[132:135]// 000000003974: D3F30084 0E13890C
	v_mfma_f32_16x16x32_fp8_fp8 v[132:135], a[14:15], v[198:199], v[132:135]// 00000000397C: D3F30084 0E138D0E
	buffer_load_dword v29, s[20:23], 0 offen lds               // 000000003984: E0511000 8005001D
	s_add_u32 m0, 0x400, s51                                   // 00000000398C: 807C33FF 00000400
	v_mfma_f32_16x16x32_fp8_fp8 v[136:139], a[16:17], v[168:169], v[136:139]// 000000003994: D3F30088 0E235110
	v_mfma_f32_16x16x32_fp8_fp8 v[136:139], a[18:19], v[170:171], v[136:139]// 00000000399C: D3F30088 0E235512
	buffer_load_dwordx4 a[96:99], v35, s[92:95], 0 offen       // 0000000039A4: E05C1000 80976023
	v_mfma_f32_16x16x32_fp8_fp8 v[136:139], a[20:21], v[172:173], v[136:139]// 0000000039AC: D3F30088 0E235914
	v_mfma_f32_16x16x32_fp8_fp8 v[136:139], a[22:23], v[174:175], v[136:139]// 0000000039B4: D3F30088 0E235D16
	buffer_load_dword v30, s[20:23], 0 offen lds               // 0000000039BC: E0511000 8005001E
	s_add_u32 m0, 0x500, s51                                   // 0000000039C4: 807C33FF 00000500
	v_mfma_f32_16x16x32_fp8_fp8 v[136:139], a[24:25], v[176:177], v[136:139]// 0000000039CC: D3F30088 0E236118
	v_mfma_f32_16x16x32_fp8_fp8 v[136:139], a[26:27], v[178:179], v[136:139]// 0000000039D4: D3F30088 0E23651A
	buffer_load_dwordx4 a[100:103], v35, s[92:95], 0 offen offset:1024// 0000000039DC: E05C1400 80976423
	v_mfma_f32_16x16x32_fp8_fp8 v[136:139], a[28:29], v[180:181], v[136:139]// 0000000039E4: D3F30088 0E23691C
	v_mfma_f32_16x16x32_fp8_fp8 v[136:139], a[30:31], v[182:183], v[136:139]// 0000000039EC: D3F30088 0E236D1E
	buffer_load_dword v31, s[20:23], 0 offen lds               // 0000000039F4: E0511000 8005001F
	s_add_u32 m0, 0x600, s51                                   // 0000000039FC: 807C33FF 00000600
	v_mfma_f32_16x16x32_fp8_fp8 v[140:143], a[16:17], v[184:185], v[140:143]// 000000003A04: D3F3008C 0E337110
	v_mfma_f32_16x16x32_fp8_fp8 v[140:143], a[18:19], v[186:187], v[140:143]// 000000003A0C: D3F3008C 0E337512
	buffer_load_dwordx4 a[104:107], v35, s[92:95], 0 offen offset:2048// 000000003A14: E05C1800 80976823
	v_mfma_f32_16x16x32_fp8_fp8 v[140:143], a[20:21], v[188:189], v[140:143]// 000000003A1C: D3F3008C 0E337914
	v_mfma_f32_16x16x32_fp8_fp8 v[140:143], a[22:23], v[190:191], v[140:143]// 000000003A24: D3F3008C 0E337D16
	buffer_load_dword v32, s[20:23], 0 offen lds               // 000000003A2C: E0511000 80050020
	s_add_u32 m0, 0x700, s51                                   // 000000003A34: 807C33FF 00000700
	v_mfma_f32_16x16x32_fp8_fp8 v[140:143], a[24:25], v[192:193], v[140:143]// 000000003A3C: D3F3008C 0E338118
	v_mfma_f32_16x16x32_fp8_fp8 v[140:143], a[26:27], v[194:195], v[140:143]// 000000003A44: D3F3008C 0E33851A
	buffer_load_dwordx4 a[108:111], v35, s[92:95], 0 offen offset:3072// 000000003A4C: E05C1C00 80976C23
	v_mfma_f32_16x16x32_fp8_fp8 v[140:143], a[28:29], v[196:197], v[140:143]// 000000003A54: D3F3008C 0E33891C
	v_mfma_f32_16x16x32_fp8_fp8 v[140:143], a[30:31], v[198:199], v[140:143]// 000000003A5C: D3F3008C 0E338D1E
	buffer_load_dword v33, s[20:23], 0 offen lds               // 000000003A64: E0511000 80050021
	s_add_u32 m0, 0, s50                                       // 000000003A6C: 807C3280
	s_waitcnt vmcnt(24)                                        // 000000003A70: BF8C4F78
	v_mfma_f32_16x16x32_fp8_fp8 v[144:147], a[32:33], v[168:169], v[144:147]// 000000003A74: D3F30090 0E435120
	v_mfma_f32_16x16x32_fp8_fp8 v[144:147], a[34:35], v[170:171], v[144:147]// 000000003A7C: D3F30090 0E435522
	buffer_load_dwordx4 a[112:115], v36, s[92:95], 0 offen     // 000000003A84: E05C1000 80977024
	v_mfma_f32_16x16x32_fp8_fp8 v[144:147], a[36:37], v[172:173], v[144:147]// 000000003A8C: D3F30090 0E435924
	v_mfma_f32_16x16x32_fp8_fp8 v[144:147], a[38:39], v[174:175], v[144:147]// 000000003A94: D3F30090 0E435D26
	v_mfma_f32_16x16x32_fp8_fp8 v[144:147], a[40:41], v[176:177], v[144:147]// 000000003A9C: D3F30090 0E436128
	v_mfma_f32_16x16x32_fp8_fp8 v[144:147], a[42:43], v[178:179], v[144:147]// 000000003AA4: D3F30090 0E43652A
	buffer_load_dwordx4 a[116:119], v36, s[92:95], 0 offen offset:1024// 000000003AAC: E05C1400 80977424
	v_mfma_f32_16x16x32_fp8_fp8 v[144:147], a[44:45], v[180:181], v[144:147]// 000000003AB4: D3F30090 0E43692C
	v_mfma_f32_16x16x32_fp8_fp8 v[144:147], a[46:47], v[182:183], v[144:147]// 000000003ABC: D3F30090 0E436D2E
	v_mfma_f32_16x16x32_fp8_fp8 v[148:151], a[32:33], v[184:185], v[148:151]// 000000003AC4: D3F30094 0E537120
	v_mfma_f32_16x16x32_fp8_fp8 v[148:151], a[34:35], v[186:187], v[148:151]// 000000003ACC: D3F30094 0E537522
	buffer_load_dwordx4 a[120:123], v36, s[92:95], 0 offen offset:2048// 000000003AD4: E05C1800 80977824
	v_mfma_f32_16x16x32_fp8_fp8 v[148:151], a[36:37], v[188:189], v[148:151]// 000000003ADC: D3F30094 0E537924
	v_mfma_f32_16x16x32_fp8_fp8 v[148:151], a[38:39], v[190:191], v[148:151]// 000000003AE4: D3F30094 0E537D26
	v_mfma_f32_16x16x32_fp8_fp8 v[148:151], a[40:41], v[192:193], v[148:151]// 000000003AEC: D3F30094 0E538128
	v_mfma_f32_16x16x32_fp8_fp8 v[148:151], a[42:43], v[194:195], v[148:151]// 000000003AF4: D3F30094 0E53852A
	buffer_load_dwordx4 a[124:127], v36, s[92:95], 0 offen offset:3072// 000000003AFC: E05C1C00 80977C24
	v_mfma_f32_16x16x32_fp8_fp8 v[148:151], a[44:45], v[196:197], v[148:151]// 000000003B04: D3F30094 0E53892C
	v_mfma_f32_16x16x32_fp8_fp8 v[148:151], a[46:47], v[198:199], v[148:151]// 000000003B0C: D3F30094 0E538D2E
	s_waitcnt vmcnt(24)                                        // 000000003B14: BF8C4F78
	v_mfma_f32_16x16x32_fp8_fp8 v[152:155], a[48:49], v[168:169], v[152:155]// 000000003B18: D3F30098 0E635130
	v_mfma_f32_16x16x32_fp8_fp8 v[152:155], a[50:51], v[170:171], v[152:155]// 000000003B20: D3F30098 0E635532
	buffer_load_dwordx4 a[128:131], v37, s[92:95], 0 offen     // 000000003B28: E05C1000 80978025
	v_mfma_f32_16x16x32_fp8_fp8 v[152:155], a[52:53], v[172:173], v[152:155]// 000000003B30: D3F30098 0E635934
	v_mfma_f32_16x16x32_fp8_fp8 v[152:155], a[54:55], v[174:175], v[152:155]// 000000003B38: D3F30098 0E635D36
	v_mfma_f32_16x16x32_fp8_fp8 v[152:155], a[56:57], v[176:177], v[152:155]// 000000003B40: D3F30098 0E636138
	v_mfma_f32_16x16x32_fp8_fp8 v[152:155], a[58:59], v[178:179], v[152:155]// 000000003B48: D3F30098 0E63653A
	buffer_load_dwordx4 a[132:135], v37, s[92:95], 0 offen offset:1024// 000000003B50: E05C1400 80978425
	v_mfma_f32_16x16x32_fp8_fp8 v[152:155], a[60:61], v[180:181], v[152:155]// 000000003B58: D3F30098 0E63693C
	v_mfma_f32_16x16x32_fp8_fp8 v[152:155], a[62:63], v[182:183], v[152:155]// 000000003B60: D3F30098 0E636D3E
	v_mfma_f32_16x16x32_fp8_fp8 v[156:159], a[48:49], v[184:185], v[156:159]// 000000003B68: D3F3009C 0E737130
	v_mfma_f32_16x16x32_fp8_fp8 v[156:159], a[50:51], v[186:187], v[156:159]// 000000003B70: D3F3009C 0E737532
	buffer_load_dwordx4 a[136:139], v37, s[92:95], 0 offen offset:2048// 000000003B78: E05C1800 80978825
	v_mfma_f32_16x16x32_fp8_fp8 v[156:159], a[52:53], v[188:189], v[156:159]// 000000003B80: D3F3009C 0E737934
	v_mfma_f32_16x16x32_fp8_fp8 v[156:159], a[54:55], v[190:191], v[156:159]// 000000003B88: D3F3009C 0E737D36
	v_mfma_f32_16x16x32_fp8_fp8 v[156:159], a[56:57], v[192:193], v[156:159]// 000000003B90: D3F3009C 0E738138
	v_mfma_f32_16x16x32_fp8_fp8 v[156:159], a[58:59], v[194:195], v[156:159]// 000000003B98: D3F3009C 0E73853A
	buffer_load_dwordx4 a[140:143], v37, s[92:95], 0 offen offset:3072// 000000003BA0: E05C1C00 80978C25
	v_mfma_f32_16x16x32_fp8_fp8 v[156:159], a[60:61], v[196:197], v[156:159]// 000000003BA8: D3F3009C 0E73893C
	v_mfma_f32_16x16x32_fp8_fp8 v[156:159], a[62:63], v[198:199], v[156:159]// 000000003BB0: D3F3009C 0E738D3E
	s_waitcnt vmcnt(24)                                        // 000000003BB8: BF8C4F78
	v_mfma_f32_16x16x32_fp8_fp8 v[160:163], a[64:65], v[168:169], v[160:163]// 000000003BBC: D3F300A0 0E835140
	v_mfma_f32_16x16x32_fp8_fp8 v[160:163], a[66:67], v[170:171], v[160:163]// 000000003BC4: D3F300A0 0E835542
	buffer_load_dwordx4 a[144:147], v38, s[92:95], 0 offen     // 000000003BCC: E05C1000 80979026
	v_mfma_f32_16x16x32_fp8_fp8 v[160:163], a[68:69], v[172:173], v[160:163]// 000000003BD4: D3F300A0 0E835944
	v_mfma_f32_16x16x32_fp8_fp8 v[160:163], a[70:71], v[174:175], v[160:163]// 000000003BDC: D3F300A0 0E835D46
	v_mfma_f32_16x16x32_fp8_fp8 v[160:163], a[72:73], v[176:177], v[160:163]// 000000003BE4: D3F300A0 0E836148
	v_mfma_f32_16x16x32_fp8_fp8 v[160:163], a[74:75], v[178:179], v[160:163]// 000000003BEC: D3F300A0 0E83654A
	buffer_load_dwordx4 a[148:151], v38, s[92:95], 0 offen offset:1024// 000000003BF4: E05C1400 80979426
	v_mfma_f32_16x16x32_fp8_fp8 v[160:163], a[76:77], v[180:181], v[160:163]// 000000003BFC: D3F300A0 0E83694C
	v_mfma_f32_16x16x32_fp8_fp8 v[160:163], a[78:79], v[182:183], v[160:163]// 000000003C04: D3F300A0 0E836D4E
	v_mfma_f32_16x16x32_fp8_fp8 v[164:167], a[64:65], v[184:185], v[164:167]// 000000003C0C: D3F300A4 0E937140
	v_mfma_f32_16x16x32_fp8_fp8 v[164:167], a[66:67], v[186:187], v[164:167]// 000000003C14: D3F300A4 0E937542
	buffer_load_dwordx4 a[152:155], v38, s[92:95], 0 offen offset:2048// 000000003C1C: E05C1800 80979826
	v_mfma_f32_16x16x32_fp8_fp8 v[164:167], a[68:69], v[188:189], v[164:167]// 000000003C24: D3F300A4 0E937944
	v_mfma_f32_16x16x32_fp8_fp8 v[164:167], a[70:71], v[190:191], v[164:167]// 000000003C2C: D3F300A4 0E937D46
	v_mfma_f32_16x16x32_fp8_fp8 v[164:167], a[72:73], v[192:193], v[164:167]// 000000003C34: D3F300A4 0E938148
	v_mfma_f32_16x16x32_fp8_fp8 v[164:167], a[74:75], v[194:195], v[164:167]// 000000003C3C: D3F300A4 0E93854A
	buffer_load_dwordx4 a[156:159], v38, s[92:95], 0 offen offset:3072// 000000003C44: E05C1C00 80979C26
	v_mfma_f32_16x16x32_fp8_fp8 v[164:167], a[76:77], v[196:197], v[164:167]// 000000003C4C: D3F300A4 0E93894C
	v_mfma_f32_16x16x32_fp8_fp8 v[164:167], a[78:79], v[198:199], v[164:167]// 000000003C54: D3F300A4 0E938D4E
	s_waitcnt vmcnt(12)                                        // 000000003C5C: BF8C0F7C
	s_barrier                                                  // 000000003C60: BF8A0000
	v_mfma_f32_16x16x32_fp8_fp8 v[64:67], a[80:81], v[168:169], v[64:67]// 000000003C64: D3F30040 0D035150
	v_mfma_f32_16x16x32_fp8_fp8 v[64:67], a[82:83], v[170:171], v[64:67]// 000000003C6C: D3F30040 0D035552
	buffer_load_dwordx4 a[0:3], v34, s[24:27], 0 offen         // 000000003C74: E05C1000 80860022
	v_mfma_f32_16x16x32_fp8_fp8 v[64:67], a[84:85], v[172:173], v[64:67]// 000000003C7C: D3F30040 0D035954
	v_mfma_f32_16x16x32_fp8_fp8 v[64:67], a[86:87], v[174:175], v[64:67]// 000000003C84: D3F30040 0D035D56
	v_mfma_f32_16x16x32_fp8_fp8 v[64:67], a[88:89], v[176:177], v[64:67]// 000000003C8C: D3F30040 0D036158
	v_mfma_f32_16x16x32_fp8_fp8 v[64:67], a[90:91], v[178:179], v[64:67]// 000000003C94: D3F30040 0D03655A
	buffer_load_dwordx4 a[4:7], v34, s[24:27], 0 offen offset:1024// 000000003C9C: E05C1400 80860422
	v_mfma_f32_16x16x32_fp8_fp8 v[64:67], a[92:93], v[180:181], v[64:67]// 000000003CA4: D3F30040 0D03695C
	v_mfma_f32_16x16x32_fp8_fp8 v[64:67], a[94:95], v[182:183], v[64:67]// 000000003CAC: D3F30040 0D036D5E
	v_mfma_f32_16x16x32_fp8_fp8 v[68:71], a[80:81], v[184:185], v[68:71]// 000000003CB4: D3F30044 0D137150
	v_mfma_f32_16x16x32_fp8_fp8 v[68:71], a[82:83], v[186:187], v[68:71]// 000000003CBC: D3F30044 0D137552
	buffer_load_dwordx4 a[8:11], v34, s[24:27], 0 offen offset:2048// 000000003CC4: E05C1800 80860822
	v_mfma_f32_16x16x32_fp8_fp8 v[68:71], a[84:85], v[188:189], v[68:71]// 000000003CCC: D3F30044 0D137954
	v_mfma_f32_16x16x32_fp8_fp8 v[68:71], a[86:87], v[190:191], v[68:71]// 000000003CD4: D3F30044 0D137D56
	v_mfma_f32_16x16x32_fp8_fp8 v[68:71], a[88:89], v[192:193], v[68:71]// 000000003CDC: D3F30044 0D138158
	v_mfma_f32_16x16x32_fp8_fp8 v[68:71], a[90:91], v[194:195], v[68:71]// 000000003CE4: D3F30044 0D13855A
	buffer_load_dwordx4 a[12:15], v34, s[24:27], 0 offen offset:3072// 000000003CEC: E05C1C00 80860C22
	v_mfma_f32_16x16x32_fp8_fp8 v[68:71], a[92:93], v[196:197], v[68:71]// 000000003CF4: D3F30044 0D13895C
	v_mfma_f32_16x16x32_fp8_fp8 v[68:71], a[94:95], v[198:199], v[68:71]// 000000003CFC: D3F30044 0D138D5E
	v_mfma_f32_16x16x32_fp8_fp8 v[72:75], a[96:97], v[168:169], v[72:75]// 000000003D04: D3F30048 0D235160
	v_mfma_f32_16x16x32_fp8_fp8 v[72:75], a[98:99], v[170:171], v[72:75]// 000000003D0C: D3F30048 0D235562
	buffer_load_dwordx4 a[16:19], v35, s[24:27], 0 offen       // 000000003D14: E05C1000 80861023
	v_mfma_f32_16x16x32_fp8_fp8 v[72:75], a[100:101], v[172:173], v[72:75]// 000000003D1C: D3F30048 0D235964
	v_mfma_f32_16x16x32_fp8_fp8 v[72:75], a[102:103], v[174:175], v[72:75]// 000000003D24: D3F30048 0D235D66
	v_mfma_f32_16x16x32_fp8_fp8 v[72:75], a[104:105], v[176:177], v[72:75]// 000000003D2C: D3F30048 0D236168
	v_mfma_f32_16x16x32_fp8_fp8 v[72:75], a[106:107], v[178:179], v[72:75]// 000000003D34: D3F30048 0D23656A
	buffer_load_dwordx4 a[20:23], v35, s[24:27], 0 offen offset:1024// 000000003D3C: E05C1400 80861423
	v_mfma_f32_16x16x32_fp8_fp8 v[72:75], a[108:109], v[180:181], v[72:75]// 000000003D44: D3F30048 0D23696C
	v_mfma_f32_16x16x32_fp8_fp8 v[72:75], a[110:111], v[182:183], v[72:75]// 000000003D4C: D3F30048 0D236D6E
	v_mfma_f32_16x16x32_fp8_fp8 v[76:79], a[96:97], v[184:185], v[76:79]// 000000003D54: D3F3004C 0D337160
	v_mfma_f32_16x16x32_fp8_fp8 v[76:79], a[98:99], v[186:187], v[76:79]// 000000003D5C: D3F3004C 0D337562
	buffer_load_dwordx4 a[24:27], v35, s[24:27], 0 offen offset:2048// 000000003D64: E05C1800 80861823
	v_mfma_f32_16x16x32_fp8_fp8 v[76:79], a[100:101], v[188:189], v[76:79]// 000000003D6C: D3F3004C 0D337964
	v_mfma_f32_16x16x32_fp8_fp8 v[76:79], a[102:103], v[190:191], v[76:79]// 000000003D74: D3F3004C 0D337D66
	v_mfma_f32_16x16x32_fp8_fp8 v[76:79], a[104:105], v[192:193], v[76:79]// 000000003D7C: D3F3004C 0D338168
	v_mfma_f32_16x16x32_fp8_fp8 v[76:79], a[106:107], v[194:195], v[76:79]// 000000003D84: D3F3004C 0D33856A
	buffer_load_dwordx4 a[28:31], v35, s[24:27], 0 offen offset:3072// 000000003D8C: E05C1C00 80861C23
	v_mfma_f32_16x16x32_fp8_fp8 v[76:79], a[108:109], v[196:197], v[76:79]// 000000003D94: D3F3004C 0D33896C
	v_mfma_f32_16x16x32_fp8_fp8 v[76:79], a[110:111], v[198:199], v[76:79]// 000000003D9C: D3F3004C 0D338D6E
	s_waitcnt vmcnt(16)                                        // 000000003DA4: BF8C4F70
	v_mfma_f32_16x16x32_fp8_fp8 v[80:83], a[112:113], v[168:169], v[80:83]// 000000003DA8: D3F30050 0D435170
	v_mfma_f32_16x16x32_fp8_fp8 v[80:83], a[114:115], v[170:171], v[80:83]// 000000003DB0: D3F30050 0D435572
	buffer_load_dwordx4 a[32:35], v36, s[24:27], 0 offen       // 000000003DB8: E05C1000 80862024
	v_mfma_f32_16x16x32_fp8_fp8 v[80:83], a[116:117], v[172:173], v[80:83]// 000000003DC0: D3F30050 0D435974
	v_mfma_f32_16x16x32_fp8_fp8 v[80:83], a[118:119], v[174:175], v[80:83]// 000000003DC8: D3F30050 0D435D76
	ds_read_b128 v[200:203], v2 offset:8320                    // 000000003DD0: D9FE2080 C8000002
	v_mfma_f32_16x16x32_fp8_fp8 v[80:83], a[120:121], v[176:177], v[80:83]// 000000003DD8: D3F30050 0D436178
	v_mfma_f32_16x16x32_fp8_fp8 v[80:83], a[122:123], v[178:179], v[80:83]// 000000003DE0: D3F30050 0D43657A
	buffer_load_dwordx4 a[36:39], v36, s[24:27], 0 offen offset:1024// 000000003DE8: E05C1400 80862424
	v_mfma_f32_16x16x32_fp8_fp8 v[80:83], a[124:125], v[180:181], v[80:83]// 000000003DF0: D3F30050 0D43697C
	v_mfma_f32_16x16x32_fp8_fp8 v[80:83], a[126:127], v[182:183], v[80:83]// 000000003DF8: D3F30050 0D436D7E
	ds_read_b128 v[204:207], v2 offset:8384                    // 000000003E00: D9FE20C0 CC000002
	v_mfma_f32_16x16x32_fp8_fp8 v[84:87], a[112:113], v[184:185], v[84:87]// 000000003E08: D3F30054 0D537170
	v_mfma_f32_16x16x32_fp8_fp8 v[84:87], a[114:115], v[186:187], v[84:87]// 000000003E10: D3F30054 0D537572
	buffer_load_dwordx4 a[40:43], v36, s[24:27], 0 offen offset:2048// 000000003E18: E05C1800 80862824
	v_mfma_f32_16x16x32_fp8_fp8 v[84:87], a[116:117], v[188:189], v[84:87]// 000000003E20: D3F30054 0D537974
	v_mfma_f32_16x16x32_fp8_fp8 v[84:87], a[118:119], v[190:191], v[84:87]// 000000003E28: D3F30054 0D537D76
	ds_read_b128 v[208:211], v2 offset:8448                    // 000000003E30: D9FE2100 D0000002
	v_mfma_f32_16x16x32_fp8_fp8 v[84:87], a[120:121], v[192:193], v[84:87]// 000000003E38: D3F30054 0D538178
	v_mfma_f32_16x16x32_fp8_fp8 v[84:87], a[122:123], v[194:195], v[84:87]// 000000003E40: D3F30054 0D53857A
	buffer_load_dwordx4 a[44:47], v36, s[24:27], 0 offen offset:3072// 000000003E48: E05C1C00 80862C24
	v_mfma_f32_16x16x32_fp8_fp8 v[84:87], a[124:125], v[196:197], v[84:87]// 000000003E50: D3F30054 0D53897C
	v_mfma_f32_16x16x32_fp8_fp8 v[84:87], a[126:127], v[198:199], v[84:87]// 000000003E58: D3F30054 0D538D7E
	ds_read_b128 v[212:215], v2 offset:8512                    // 000000003E60: D9FE2140 D4000002
	s_waitcnt vmcnt(16)                                        // 000000003E68: BF8C4F70
	v_mfma_f32_16x16x32_fp8_fp8 v[88:91], a[128:129], v[168:169], v[88:91]// 000000003E6C: D3F30058 0D635180
	v_mfma_f32_16x16x32_fp8_fp8 v[88:91], a[130:131], v[170:171], v[88:91]// 000000003E74: D3F30058 0D635582
	buffer_load_dwordx4 a[48:51], v37, s[24:27], 0 offen       // 000000003E7C: E05C1000 80863025
	v_mfma_f32_16x16x32_fp8_fp8 v[88:91], a[132:133], v[172:173], v[88:91]// 000000003E84: D3F30058 0D635984
	v_mfma_f32_16x16x32_fp8_fp8 v[88:91], a[134:135], v[174:175], v[88:91]// 000000003E8C: D3F30058 0D635D86
	ds_read_b128 v[216:219], v2 offset:9344                    // 000000003E94: D9FE2480 D8000002
	v_mfma_f32_16x16x32_fp8_fp8 v[88:91], a[136:137], v[176:177], v[88:91]// 000000003E9C: D3F30058 0D636188
	v_mfma_f32_16x16x32_fp8_fp8 v[88:91], a[138:139], v[178:179], v[88:91]// 000000003EA4: D3F30058 0D63658A
	buffer_load_dwordx4 a[52:55], v37, s[24:27], 0 offen offset:1024// 000000003EAC: E05C1400 80863425
	v_mfma_f32_16x16x32_fp8_fp8 v[88:91], a[140:141], v[180:181], v[88:91]// 000000003EB4: D3F30058 0D63698C
	v_mfma_f32_16x16x32_fp8_fp8 v[88:91], a[142:143], v[182:183], v[88:91]// 000000003EBC: D3F30058 0D636D8E
	ds_read_b128 v[220:223], v2 offset:9408                    // 000000003EC4: D9FE24C0 DC000002
	v_mfma_f32_16x16x32_fp8_fp8 v[92:95], a[128:129], v[184:185], v[92:95]// 000000003ECC: D3F3005C 0D737180
	v_mfma_f32_16x16x32_fp8_fp8 v[92:95], a[130:131], v[186:187], v[92:95]// 000000003ED4: D3F3005C 0D737582
	buffer_load_dwordx4 a[56:59], v37, s[24:27], 0 offen offset:2048// 000000003EDC: E05C1800 80863825
	v_mfma_f32_16x16x32_fp8_fp8 v[92:95], a[132:133], v[188:189], v[92:95]// 000000003EE4: D3F3005C 0D737984
	v_mfma_f32_16x16x32_fp8_fp8 v[92:95], a[134:135], v[190:191], v[92:95]// 000000003EEC: D3F3005C 0D737D86
	ds_read_b128 v[224:227], v2 offset:9472                    // 000000003EF4: D9FE2500 E0000002
	v_mfma_f32_16x16x32_fp8_fp8 v[92:95], a[136:137], v[192:193], v[92:95]// 000000003EFC: D3F3005C 0D738188
	v_mfma_f32_16x16x32_fp8_fp8 v[92:95], a[138:139], v[194:195], v[92:95]// 000000003F04: D3F3005C 0D73858A
	buffer_load_dwordx4 a[60:63], v37, s[24:27], 0 offen offset:3072// 000000003F0C: E05C1C00 80863C25
	v_mfma_f32_16x16x32_fp8_fp8 v[92:95], a[140:141], v[196:197], v[92:95]// 000000003F14: D3F3005C 0D73898C
	v_mfma_f32_16x16x32_fp8_fp8 v[92:95], a[142:143], v[198:199], v[92:95]// 000000003F1C: D3F3005C 0D738D8E
	ds_read_b128 v[228:231], v2 offset:9536                    // 000000003F24: D9FE2540 E4000002
	s_waitcnt vmcnt(16)                                        // 000000003F2C: BF8C4F70
	v_mfma_f32_16x16x32_fp8_fp8 v[96:99], a[144:145], v[168:169], v[96:99]// 000000003F30: D3F30060 0D835190
	v_mfma_f32_16x16x32_fp8_fp8 v[96:99], a[146:147], v[170:171], v[96:99]// 000000003F38: D3F30060 0D835592
	buffer_load_dwordx4 a[64:67], v38, s[24:27], 0 offen       // 000000003F40: E05C1000 80864026
	v_mfma_f32_16x16x32_fp8_fp8 v[96:99], a[148:149], v[172:173], v[96:99]// 000000003F48: D3F30060 0D835994
	v_mfma_f32_16x16x32_fp8_fp8 v[96:99], a[150:151], v[174:175], v[96:99]// 000000003F50: D3F30060 0D835D96
	v_mfma_f32_16x16x32_fp8_fp8 v[96:99], a[152:153], v[176:177], v[96:99]// 000000003F58: D3F30060 0D836198
	v_mfma_f32_16x16x32_fp8_fp8 v[96:99], a[154:155], v[178:179], v[96:99]// 000000003F60: D3F30060 0D83659A
	buffer_load_dwordx4 a[68:71], v38, s[24:27], 0 offen offset:1024// 000000003F68: E05C1400 80864426
	v_mfma_f32_16x16x32_fp8_fp8 v[96:99], a[156:157], v[180:181], v[96:99]// 000000003F70: D3F30060 0D83699C
	v_mfma_f32_16x16x32_fp8_fp8 v[96:99], a[158:159], v[182:183], v[96:99]// 000000003F78: D3F30060 0D836D9E
	v_mfma_f32_16x16x32_fp8_fp8 v[100:103], a[144:145], v[184:185], v[100:103]// 000000003F80: D3F30064 0D937190
	v_mfma_f32_16x16x32_fp8_fp8 v[100:103], a[146:147], v[186:187], v[100:103]// 000000003F88: D3F30064 0D937592
	buffer_load_dwordx4 a[72:75], v38, s[24:27], 0 offen offset:2048// 000000003F90: E05C1800 80864826
	v_mfma_f32_16x16x32_fp8_fp8 v[100:103], a[148:149], v[188:189], v[100:103]// 000000003F98: D3F30064 0D937994
	v_mfma_f32_16x16x32_fp8_fp8 v[100:103], a[150:151], v[190:191], v[100:103]// 000000003FA0: D3F30064 0D937D96
	v_mfma_f32_16x16x32_fp8_fp8 v[100:103], a[152:153], v[192:193], v[100:103]// 000000003FA8: D3F30064 0D938198
	v_mfma_f32_16x16x32_fp8_fp8 v[100:103], a[154:155], v[194:195], v[100:103]// 000000003FB0: D3F30064 0D93859A
	buffer_load_dwordx4 a[76:79], v38, s[24:27], 0 offen offset:3072// 000000003FB8: E05C1C00 80864C26
	v_mfma_f32_16x16x32_fp8_fp8 v[100:103], a[156:157], v[196:197], v[100:103]// 000000003FC0: D3F30064 0D93899C
	v_mfma_f32_16x16x32_fp8_fp8 v[100:103], a[158:159], v[198:199], v[100:103]// 000000003FC8: D3F30064 0D938D9E
	s_add_u32 s60, 0x200, s80                                  // 000000003FD0: 803C50FF 00000200
	s_cmp_lt_u32 s60, s81                                      // 000000003FD8: BF0A513C
	s_cselect_b32 s57, s57, 0                                  // 000000003FDC: 85398039
	s_add_u32 s60, 0x200, s80                                  // 000000003FE0: 803C50FF 00000200
	s_cmp_lt_u32 s60, s81                                      // 000000003FE8: BF0A513C
	s_cselect_b32 s58, s58, 0                                  // 000000003FEC: 853A803A
	s_add_u32 s20, s57, s20                                    // 000000003FF0: 80141439
	s_addc_u32 s21, 0, s21                                     // 000000003FF4: 82151580
	s_add_u32 s24, s58, s24                                    // 000000003FF8: 8018183A
	s_addc_u32 s25, 0, s25                                     // 000000003FFC: 82191980
	s_add_u32 s92, s90, s92                                    // 000000004000: 805C5C5A
	s_addc_u32 s93, 0, s93                                     // 000000004004: 825D5D80
	s_addk_i32 s80, 0x100                                      // 000000004008: B7500100
	s_cmp_lt_i32 s80, s81                                      // 00000000400C: BF045150
	s_cbranch_scc0 label_0660                                  // 000000004010: BF8401DB
	s_waitcnt vmcnt(12) lgkmcnt(0)                             // 000000004014: BF8C007C
	s_barrier                                                  // 000000004018: BF8A0000
	v_mfma_f32_16x16x32_fp8_fp8 v[128:131], a[0:1], v[200:201], v[128:131]// 00000000401C: D3F30080 0E039100
	v_mfma_f32_16x16x32_fp8_fp8 v[128:131], a[2:3], v[202:203], v[128:131]// 000000004024: D3F30080 0E039502
	buffer_load_dwordx4 a[80:83], v34, s[92:95], 0 offen       // 00000000402C: E05C1000 80975022
	v_mfma_f32_16x16x32_fp8_fp8 v[128:131], a[4:5], v[204:205], v[128:131]// 000000004034: D3F30080 0E039904
	v_mfma_f32_16x16x32_fp8_fp8 v[128:131], a[6:7], v[206:207], v[128:131]// 00000000403C: D3F30080 0E039D06
	buffer_load_dword v26, s[20:23], 0 offen lds               // 000000004044: E0511000 8005001A
	s_add_u32 m0, 0x100, s50                                   // 00000000404C: 807C32FF 00000100
	v_mfma_f32_16x16x32_fp8_fp8 v[128:131], a[8:9], v[208:209], v[128:131]// 000000004054: D3F30080 0E03A108
	v_mfma_f32_16x16x32_fp8_fp8 v[128:131], a[10:11], v[210:211], v[128:131]// 00000000405C: D3F30080 0E03A50A
	buffer_load_dwordx4 a[84:87], v34, s[92:95], 0 offen offset:1024// 000000004064: E05C1400 80975422
	v_mfma_f32_16x16x32_fp8_fp8 v[128:131], a[12:13], v[212:213], v[128:131]// 00000000406C: D3F30080 0E03A90C
	v_mfma_f32_16x16x32_fp8_fp8 v[128:131], a[14:15], v[214:215], v[128:131]// 000000004074: D3F30080 0E03AD0E
	buffer_load_dword v27, s[20:23], 0 offen lds               // 00000000407C: E0511000 8005001B
	s_add_u32 m0, 0x200, s50                                   // 000000004084: 807C32FF 00000200
	v_mfma_f32_16x16x32_fp8_fp8 v[132:135], a[0:1], v[216:217], v[132:135]// 00000000408C: D3F30084 0E13B100
	v_mfma_f32_16x16x32_fp8_fp8 v[132:135], a[2:3], v[218:219], v[132:135]// 000000004094: D3F30084 0E13B502
	buffer_load_dwordx4 a[88:91], v34, s[92:95], 0 offen offset:2048// 00000000409C: E05C1800 80975822
	v_mfma_f32_16x16x32_fp8_fp8 v[132:135], a[4:5], v[220:221], v[132:135]// 0000000040A4: D3F30084 0E13B904
	v_mfma_f32_16x16x32_fp8_fp8 v[132:135], a[6:7], v[222:223], v[132:135]// 0000000040AC: D3F30084 0E13BD06
	buffer_load_dword v28, s[20:23], 0 offen lds               // 0000000040B4: E0511000 8005001C
	s_add_u32 m0, 0x300, s50                                   // 0000000040BC: 807C32FF 00000300
	v_mfma_f32_16x16x32_fp8_fp8 v[132:135], a[8:9], v[224:225], v[132:135]// 0000000040C4: D3F30084 0E13C108
	v_mfma_f32_16x16x32_fp8_fp8 v[132:135], a[10:11], v[226:227], v[132:135]// 0000000040CC: D3F30084 0E13C50A
	buffer_load_dwordx4 a[92:95], v34, s[92:95], 0 offen offset:3072// 0000000040D4: E05C1C00 80975C22
	v_mfma_f32_16x16x32_fp8_fp8 v[132:135], a[12:13], v[228:229], v[132:135]// 0000000040DC: D3F30084 0E13C90C
	v_mfma_f32_16x16x32_fp8_fp8 v[132:135], a[14:15], v[230:231], v[132:135]// 0000000040E4: D3F30084 0E13CD0E
	buffer_load_dword v29, s[20:23], 0 offen lds               // 0000000040EC: E0511000 8005001D
	s_add_u32 m0, 0x400, s50                                   // 0000000040F4: 807C32FF 00000400
	v_mfma_f32_16x16x32_fp8_fp8 v[136:139], a[16:17], v[200:201], v[136:139]// 0000000040FC: D3F30088 0E239110
	v_mfma_f32_16x16x32_fp8_fp8 v[136:139], a[18:19], v[202:203], v[136:139]// 000000004104: D3F30088 0E239512
	buffer_load_dwordx4 a[96:99], v35, s[92:95], 0 offen       // 00000000410C: E05C1000 80976023
	v_mfma_f32_16x16x32_fp8_fp8 v[136:139], a[20:21], v[204:205], v[136:139]// 000000004114: D3F30088 0E239914
	v_mfma_f32_16x16x32_fp8_fp8 v[136:139], a[22:23], v[206:207], v[136:139]// 00000000411C: D3F30088 0E239D16
	buffer_load_dword v30, s[20:23], 0 offen lds               // 000000004124: E0511000 8005001E
	s_add_u32 m0, 0x500, s50                                   // 00000000412C: 807C32FF 00000500
	v_mfma_f32_16x16x32_fp8_fp8 v[136:139], a[24:25], v[208:209], v[136:139]// 000000004134: D3F30088 0E23A118
	v_mfma_f32_16x16x32_fp8_fp8 v[136:139], a[26:27], v[210:211], v[136:139]// 00000000413C: D3F30088 0E23A51A
	buffer_load_dwordx4 a[100:103], v35, s[92:95], 0 offen offset:1024// 000000004144: E05C1400 80976423
	v_mfma_f32_16x16x32_fp8_fp8 v[136:139], a[28:29], v[212:213], v[136:139]// 00000000414C: D3F30088 0E23A91C
	v_mfma_f32_16x16x32_fp8_fp8 v[136:139], a[30:31], v[214:215], v[136:139]// 000000004154: D3F30088 0E23AD1E
	buffer_load_dword v31, s[20:23], 0 offen lds               // 00000000415C: E0511000 8005001F
	s_add_u32 m0, 0x600, s50                                   // 000000004164: 807C32FF 00000600
	v_mfma_f32_16x16x32_fp8_fp8 v[140:143], a[16:17], v[216:217], v[140:143]// 00000000416C: D3F3008C 0E33B110
	v_mfma_f32_16x16x32_fp8_fp8 v[140:143], a[18:19], v[218:219], v[140:143]// 000000004174: D3F3008C 0E33B512
	buffer_load_dwordx4 a[104:107], v35, s[92:95], 0 offen offset:2048// 00000000417C: E05C1800 80976823
	v_mfma_f32_16x16x32_fp8_fp8 v[140:143], a[20:21], v[220:221], v[140:143]// 000000004184: D3F3008C 0E33B914
	v_mfma_f32_16x16x32_fp8_fp8 v[140:143], a[22:23], v[222:223], v[140:143]// 00000000418C: D3F3008C 0E33BD16
	buffer_load_dword v32, s[20:23], 0 offen lds               // 000000004194: E0511000 80050020
	s_add_u32 m0, 0x700, s50                                   // 00000000419C: 807C32FF 00000700
	v_mfma_f32_16x16x32_fp8_fp8 v[140:143], a[24:25], v[224:225], v[140:143]// 0000000041A4: D3F3008C 0E33C118
	v_mfma_f32_16x16x32_fp8_fp8 v[140:143], a[26:27], v[226:227], v[140:143]// 0000000041AC: D3F3008C 0E33C51A
	buffer_load_dwordx4 a[108:111], v35, s[92:95], 0 offen offset:3072// 0000000041B4: E05C1C00 80976C23
	v_mfma_f32_16x16x32_fp8_fp8 v[140:143], a[28:29], v[228:229], v[140:143]// 0000000041BC: D3F3008C 0E33C91C
	v_mfma_f32_16x16x32_fp8_fp8 v[140:143], a[30:31], v[230:231], v[140:143]// 0000000041C4: D3F3008C 0E33CD1E
	buffer_load_dword v33, s[20:23], 0 offen lds               // 0000000041CC: E0511000 80050021
	s_add_u32 m0, 0, s51                                       // 0000000041D4: 807C3380
	s_waitcnt vmcnt(24)                                        // 0000000041D8: BF8C4F78
	v_mfma_f32_16x16x32_fp8_fp8 v[144:147], a[32:33], v[200:201], v[144:147]// 0000000041DC: D3F30090 0E439120
	v_mfma_f32_16x16x32_fp8_fp8 v[144:147], a[34:35], v[202:203], v[144:147]// 0000000041E4: D3F30090 0E439522
	buffer_load_dwordx4 a[112:115], v36, s[92:95], 0 offen     // 0000000041EC: E05C1000 80977024
	v_mfma_f32_16x16x32_fp8_fp8 v[144:147], a[36:37], v[204:205], v[144:147]// 0000000041F4: D3F30090 0E439924
	v_mfma_f32_16x16x32_fp8_fp8 v[144:147], a[38:39], v[206:207], v[144:147]// 0000000041FC: D3F30090 0E439D26
	v_mfma_f32_16x16x32_fp8_fp8 v[144:147], a[40:41], v[208:209], v[144:147]// 000000004204: D3F30090 0E43A128
	v_mfma_f32_16x16x32_fp8_fp8 v[144:147], a[42:43], v[210:211], v[144:147]// 00000000420C: D3F30090 0E43A52A
	buffer_load_dwordx4 a[116:119], v36, s[92:95], 0 offen offset:1024// 000000004214: E05C1400 80977424
	v_mfma_f32_16x16x32_fp8_fp8 v[144:147], a[44:45], v[212:213], v[144:147]// 00000000421C: D3F30090 0E43A92C
	v_mfma_f32_16x16x32_fp8_fp8 v[144:147], a[46:47], v[214:215], v[144:147]// 000000004224: D3F30090 0E43AD2E
	v_mfma_f32_16x16x32_fp8_fp8 v[148:151], a[32:33], v[216:217], v[148:151]// 00000000422C: D3F30094 0E53B120
	v_mfma_f32_16x16x32_fp8_fp8 v[148:151], a[34:35], v[218:219], v[148:151]// 000000004234: D3F30094 0E53B522
	buffer_load_dwordx4 a[120:123], v36, s[92:95], 0 offen offset:2048// 00000000423C: E05C1800 80977824
	v_mfma_f32_16x16x32_fp8_fp8 v[148:151], a[36:37], v[220:221], v[148:151]// 000000004244: D3F30094 0E53B924
	v_mfma_f32_16x16x32_fp8_fp8 v[148:151], a[38:39], v[222:223], v[148:151]// 00000000424C: D3F30094 0E53BD26
	v_mfma_f32_16x16x32_fp8_fp8 v[148:151], a[40:41], v[224:225], v[148:151]// 000000004254: D3F30094 0E53C128
	v_mfma_f32_16x16x32_fp8_fp8 v[148:151], a[42:43], v[226:227], v[148:151]// 00000000425C: D3F30094 0E53C52A
	buffer_load_dwordx4 a[124:127], v36, s[92:95], 0 offen offset:3072// 000000004264: E05C1C00 80977C24
	v_mfma_f32_16x16x32_fp8_fp8 v[148:151], a[44:45], v[228:229], v[148:151]// 00000000426C: D3F30094 0E53C92C
	v_mfma_f32_16x16x32_fp8_fp8 v[148:151], a[46:47], v[230:231], v[148:151]// 000000004274: D3F30094 0E53CD2E
	s_waitcnt vmcnt(24)                                        // 00000000427C: BF8C4F78
	v_mfma_f32_16x16x32_fp8_fp8 v[152:155], a[48:49], v[200:201], v[152:155]// 000000004280: D3F30098 0E639130
	v_mfma_f32_16x16x32_fp8_fp8 v[152:155], a[50:51], v[202:203], v[152:155]// 000000004288: D3F30098 0E639532
	buffer_load_dwordx4 a[128:131], v37, s[92:95], 0 offen     // 000000004290: E05C1000 80978025
	v_mfma_f32_16x16x32_fp8_fp8 v[152:155], a[52:53], v[204:205], v[152:155]// 000000004298: D3F30098 0E639934
	v_mfma_f32_16x16x32_fp8_fp8 v[152:155], a[54:55], v[206:207], v[152:155]// 0000000042A0: D3F30098 0E639D36
	v_mfma_f32_16x16x32_fp8_fp8 v[152:155], a[56:57], v[208:209], v[152:155]// 0000000042A8: D3F30098 0E63A138
	v_mfma_f32_16x16x32_fp8_fp8 v[152:155], a[58:59], v[210:211], v[152:155]// 0000000042B0: D3F30098 0E63A53A
	buffer_load_dwordx4 a[132:135], v37, s[92:95], 0 offen offset:1024// 0000000042B8: E05C1400 80978425
	v_mfma_f32_16x16x32_fp8_fp8 v[152:155], a[60:61], v[212:213], v[152:155]// 0000000042C0: D3F30098 0E63A93C
	v_mfma_f32_16x16x32_fp8_fp8 v[152:155], a[62:63], v[214:215], v[152:155]// 0000000042C8: D3F30098 0E63AD3E
	v_mfma_f32_16x16x32_fp8_fp8 v[156:159], a[48:49], v[216:217], v[156:159]// 0000000042D0: D3F3009C 0E73B130
	v_mfma_f32_16x16x32_fp8_fp8 v[156:159], a[50:51], v[218:219], v[156:159]// 0000000042D8: D3F3009C 0E73B532
	buffer_load_dwordx4 a[136:139], v37, s[92:95], 0 offen offset:2048// 0000000042E0: E05C1800 80978825
	v_mfma_f32_16x16x32_fp8_fp8 v[156:159], a[52:53], v[220:221], v[156:159]// 0000000042E8: D3F3009C 0E73B934
	v_mfma_f32_16x16x32_fp8_fp8 v[156:159], a[54:55], v[222:223], v[156:159]// 0000000042F0: D3F3009C 0E73BD36
	v_mfma_f32_16x16x32_fp8_fp8 v[156:159], a[56:57], v[224:225], v[156:159]// 0000000042F8: D3F3009C 0E73C138
	v_mfma_f32_16x16x32_fp8_fp8 v[156:159], a[58:59], v[226:227], v[156:159]// 000000004300: D3F3009C 0E73C53A
	buffer_load_dwordx4 a[140:143], v37, s[92:95], 0 offen offset:3072// 000000004308: E05C1C00 80978C25
	v_mfma_f32_16x16x32_fp8_fp8 v[156:159], a[60:61], v[228:229], v[156:159]// 000000004310: D3F3009C 0E73C93C
	v_mfma_f32_16x16x32_fp8_fp8 v[156:159], a[62:63], v[230:231], v[156:159]// 000000004318: D3F3009C 0E73CD3E
	s_waitcnt vmcnt(24)                                        // 000000004320: BF8C4F78
	v_mfma_f32_16x16x32_fp8_fp8 v[160:163], a[64:65], v[200:201], v[160:163]// 000000004324: D3F300A0 0E839140
	v_mfma_f32_16x16x32_fp8_fp8 v[160:163], a[66:67], v[202:203], v[160:163]// 00000000432C: D3F300A0 0E839542
	buffer_load_dwordx4 a[144:147], v38, s[92:95], 0 offen     // 000000004334: E05C1000 80979026
	v_mfma_f32_16x16x32_fp8_fp8 v[160:163], a[68:69], v[204:205], v[160:163]// 00000000433C: D3F300A0 0E839944
	v_mfma_f32_16x16x32_fp8_fp8 v[160:163], a[70:71], v[206:207], v[160:163]// 000000004344: D3F300A0 0E839D46
	v_mfma_f32_16x16x32_fp8_fp8 v[160:163], a[72:73], v[208:209], v[160:163]// 00000000434C: D3F300A0 0E83A148
	v_mfma_f32_16x16x32_fp8_fp8 v[160:163], a[74:75], v[210:211], v[160:163]// 000000004354: D3F300A0 0E83A54A
	buffer_load_dwordx4 a[148:151], v38, s[92:95], 0 offen offset:1024// 00000000435C: E05C1400 80979426
	v_mfma_f32_16x16x32_fp8_fp8 v[160:163], a[76:77], v[212:213], v[160:163]// 000000004364: D3F300A0 0E83A94C
	v_mfma_f32_16x16x32_fp8_fp8 v[160:163], a[78:79], v[214:215], v[160:163]// 00000000436C: D3F300A0 0E83AD4E
	v_mfma_f32_16x16x32_fp8_fp8 v[164:167], a[64:65], v[216:217], v[164:167]// 000000004374: D3F300A4 0E93B140
	v_mfma_f32_16x16x32_fp8_fp8 v[164:167], a[66:67], v[218:219], v[164:167]// 00000000437C: D3F300A4 0E93B542
	buffer_load_dwordx4 a[152:155], v38, s[92:95], 0 offen offset:2048// 000000004384: E05C1800 80979826
	v_mfma_f32_16x16x32_fp8_fp8 v[164:167], a[68:69], v[220:221], v[164:167]// 00000000438C: D3F300A4 0E93B944
	v_mfma_f32_16x16x32_fp8_fp8 v[164:167], a[70:71], v[222:223], v[164:167]// 000000004394: D3F300A4 0E93BD46
	v_mfma_f32_16x16x32_fp8_fp8 v[164:167], a[72:73], v[224:225], v[164:167]// 00000000439C: D3F300A4 0E93C148
	v_mfma_f32_16x16x32_fp8_fp8 v[164:167], a[74:75], v[226:227], v[164:167]// 0000000043A4: D3F300A4 0E93C54A
	buffer_load_dwordx4 a[156:159], v38, s[92:95], 0 offen offset:3072// 0000000043AC: E05C1C00 80979C26
	v_mfma_f32_16x16x32_fp8_fp8 v[164:167], a[76:77], v[228:229], v[164:167]// 0000000043B4: D3F300A4 0E93C94C
	v_mfma_f32_16x16x32_fp8_fp8 v[164:167], a[78:79], v[230:231], v[164:167]// 0000000043BC: D3F300A4 0E93CD4E
	s_waitcnt vmcnt(12)                                        // 0000000043C4: BF8C0F7C
	s_barrier                                                  // 0000000043C8: BF8A0000
	v_mfma_f32_16x16x32_fp8_fp8 v[64:67], a[80:81], v[200:201], v[64:67]// 0000000043CC: D3F30040 0D039150
	v_mfma_f32_16x16x32_fp8_fp8 v[64:67], a[82:83], v[202:203], v[64:67]// 0000000043D4: D3F30040 0D039552
	buffer_load_dwordx4 a[0:3], v34, s[24:27], 0 offen         // 0000000043DC: E05C1000 80860022
	v_mfma_f32_16x16x32_fp8_fp8 v[64:67], a[84:85], v[204:205], v[64:67]// 0000000043E4: D3F30040 0D039954
	v_mfma_f32_16x16x32_fp8_fp8 v[64:67], a[86:87], v[206:207], v[64:67]// 0000000043EC: D3F30040 0D039D56
	v_mfma_f32_16x16x32_fp8_fp8 v[64:67], a[88:89], v[208:209], v[64:67]// 0000000043F4: D3F30040 0D03A158
	v_mfma_f32_16x16x32_fp8_fp8 v[64:67], a[90:91], v[210:211], v[64:67]// 0000000043FC: D3F30040 0D03A55A
	buffer_load_dwordx4 a[4:7], v34, s[24:27], 0 offen offset:1024// 000000004404: E05C1400 80860422
	v_mfma_f32_16x16x32_fp8_fp8 v[64:67], a[92:93], v[212:213], v[64:67]// 00000000440C: D3F30040 0D03A95C
	v_mfma_f32_16x16x32_fp8_fp8 v[64:67], a[94:95], v[214:215], v[64:67]// 000000004414: D3F30040 0D03AD5E
	v_mfma_f32_16x16x32_fp8_fp8 v[68:71], a[80:81], v[216:217], v[68:71]// 00000000441C: D3F30044 0D13B150
	v_mfma_f32_16x16x32_fp8_fp8 v[68:71], a[82:83], v[218:219], v[68:71]// 000000004424: D3F30044 0D13B552
	buffer_load_dwordx4 a[8:11], v34, s[24:27], 0 offen offset:2048// 00000000442C: E05C1800 80860822
	v_mfma_f32_16x16x32_fp8_fp8 v[68:71], a[84:85], v[220:221], v[68:71]// 000000004434: D3F30044 0D13B954
	v_mfma_f32_16x16x32_fp8_fp8 v[68:71], a[86:87], v[222:223], v[68:71]// 00000000443C: D3F30044 0D13BD56
	v_mfma_f32_16x16x32_fp8_fp8 v[68:71], a[88:89], v[224:225], v[68:71]// 000000004444: D3F30044 0D13C158
	v_mfma_f32_16x16x32_fp8_fp8 v[68:71], a[90:91], v[226:227], v[68:71]// 00000000444C: D3F30044 0D13C55A
	buffer_load_dwordx4 a[12:15], v34, s[24:27], 0 offen offset:3072// 000000004454: E05C1C00 80860C22
	v_mfma_f32_16x16x32_fp8_fp8 v[68:71], a[92:93], v[228:229], v[68:71]// 00000000445C: D3F30044 0D13C95C
	v_mfma_f32_16x16x32_fp8_fp8 v[68:71], a[94:95], v[230:231], v[68:71]// 000000004464: D3F30044 0D13CD5E
	v_mfma_f32_16x16x32_fp8_fp8 v[72:75], a[96:97], v[200:201], v[72:75]// 00000000446C: D3F30048 0D239160
	v_mfma_f32_16x16x32_fp8_fp8 v[72:75], a[98:99], v[202:203], v[72:75]// 000000004474: D3F30048 0D239562
	buffer_load_dwordx4 a[16:19], v35, s[24:27], 0 offen       // 00000000447C: E05C1000 80861023
	v_mfma_f32_16x16x32_fp8_fp8 v[72:75], a[100:101], v[204:205], v[72:75]// 000000004484: D3F30048 0D239964
	v_mfma_f32_16x16x32_fp8_fp8 v[72:75], a[102:103], v[206:207], v[72:75]// 00000000448C: D3F30048 0D239D66
	v_mfma_f32_16x16x32_fp8_fp8 v[72:75], a[104:105], v[208:209], v[72:75]// 000000004494: D3F30048 0D23A168
	v_mfma_f32_16x16x32_fp8_fp8 v[72:75], a[106:107], v[210:211], v[72:75]// 00000000449C: D3F30048 0D23A56A
	buffer_load_dwordx4 a[20:23], v35, s[24:27], 0 offen offset:1024// 0000000044A4: E05C1400 80861423
	v_mfma_f32_16x16x32_fp8_fp8 v[72:75], a[108:109], v[212:213], v[72:75]// 0000000044AC: D3F30048 0D23A96C
	v_mfma_f32_16x16x32_fp8_fp8 v[72:75], a[110:111], v[214:215], v[72:75]// 0000000044B4: D3F30048 0D23AD6E
	v_mfma_f32_16x16x32_fp8_fp8 v[76:79], a[96:97], v[216:217], v[76:79]// 0000000044BC: D3F3004C 0D33B160
	v_mfma_f32_16x16x32_fp8_fp8 v[76:79], a[98:99], v[218:219], v[76:79]// 0000000044C4: D3F3004C 0D33B562
	buffer_load_dwordx4 a[24:27], v35, s[24:27], 0 offen offset:2048// 0000000044CC: E05C1800 80861823
	v_mfma_f32_16x16x32_fp8_fp8 v[76:79], a[100:101], v[220:221], v[76:79]// 0000000044D4: D3F3004C 0D33B964
	v_mfma_f32_16x16x32_fp8_fp8 v[76:79], a[102:103], v[222:223], v[76:79]// 0000000044DC: D3F3004C 0D33BD66
	v_mfma_f32_16x16x32_fp8_fp8 v[76:79], a[104:105], v[224:225], v[76:79]// 0000000044E4: D3F3004C 0D33C168
	v_mfma_f32_16x16x32_fp8_fp8 v[76:79], a[106:107], v[226:227], v[76:79]// 0000000044EC: D3F3004C 0D33C56A
	buffer_load_dwordx4 a[28:31], v35, s[24:27], 0 offen offset:3072// 0000000044F4: E05C1C00 80861C23
	v_mfma_f32_16x16x32_fp8_fp8 v[76:79], a[108:109], v[228:229], v[76:79]// 0000000044FC: D3F3004C 0D33C96C
	v_mfma_f32_16x16x32_fp8_fp8 v[76:79], a[110:111], v[230:231], v[76:79]// 000000004504: D3F3004C 0D33CD6E
	s_waitcnt vmcnt(16)                                        // 00000000450C: BF8C4F70
	v_mfma_f32_16x16x32_fp8_fp8 v[80:83], a[112:113], v[200:201], v[80:83]// 000000004510: D3F30050 0D439170
	v_mfma_f32_16x16x32_fp8_fp8 v[80:83], a[114:115], v[202:203], v[80:83]// 000000004518: D3F30050 0D439572
	buffer_load_dwordx4 a[32:35], v36, s[24:27], 0 offen       // 000000004520: E05C1000 80862024
	v_mfma_f32_16x16x32_fp8_fp8 v[80:83], a[116:117], v[204:205], v[80:83]// 000000004528: D3F30050 0D439974
	v_mfma_f32_16x16x32_fp8_fp8 v[80:83], a[118:119], v[206:207], v[80:83]// 000000004530: D3F30050 0D439D76
	ds_read_b128 v[168:171], v2                                // 000000004538: D9FE0000 A8000002
	v_mfma_f32_16x16x32_fp8_fp8 v[80:83], a[120:121], v[208:209], v[80:83]// 000000004540: D3F30050 0D43A178
	v_mfma_f32_16x16x32_fp8_fp8 v[80:83], a[122:123], v[210:211], v[80:83]// 000000004548: D3F30050 0D43A57A
	buffer_load_dwordx4 a[36:39], v36, s[24:27], 0 offen offset:1024// 000000004550: E05C1400 80862424
	v_mfma_f32_16x16x32_fp8_fp8 v[80:83], a[124:125], v[212:213], v[80:83]// 000000004558: D3F30050 0D43A97C
	v_mfma_f32_16x16x32_fp8_fp8 v[80:83], a[126:127], v[214:215], v[80:83]// 000000004560: D3F30050 0D43AD7E
	ds_read_b128 v[172:175], v2 offset:64                      // 000000004568: D9FE0040 AC000002
	v_mfma_f32_16x16x32_fp8_fp8 v[84:87], a[112:113], v[216:217], v[84:87]// 000000004570: D3F30054 0D53B170
	v_mfma_f32_16x16x32_fp8_fp8 v[84:87], a[114:115], v[218:219], v[84:87]// 000000004578: D3F30054 0D53B572
	buffer_load_dwordx4 a[40:43], v36, s[24:27], 0 offen offset:2048// 000000004580: E05C1800 80862824
	v_mfma_f32_16x16x32_fp8_fp8 v[84:87], a[116:117], v[220:221], v[84:87]// 000000004588: D3F30054 0D53B974
	v_mfma_f32_16x16x32_fp8_fp8 v[84:87], a[118:119], v[222:223], v[84:87]// 000000004590: D3F30054 0D53BD76
	ds_read_b128 v[176:179], v2 offset:128                     // 000000004598: D9FE0080 B0000002
	v_mfma_f32_16x16x32_fp8_fp8 v[84:87], a[120:121], v[224:225], v[84:87]// 0000000045A0: D3F30054 0D53C178
	v_mfma_f32_16x16x32_fp8_fp8 v[84:87], a[122:123], v[226:227], v[84:87]// 0000000045A8: D3F30054 0D53C57A
	buffer_load_dwordx4 a[44:47], v36, s[24:27], 0 offen offset:3072// 0000000045B0: E05C1C00 80862C24
	v_mfma_f32_16x16x32_fp8_fp8 v[84:87], a[124:125], v[228:229], v[84:87]// 0000000045B8: D3F30054 0D53C97C
	v_mfma_f32_16x16x32_fp8_fp8 v[84:87], a[126:127], v[230:231], v[84:87]// 0000000045C0: D3F30054 0D53CD7E
	ds_read_b128 v[180:183], v2 offset:192                     // 0000000045C8: D9FE00C0 B4000002
	s_waitcnt vmcnt(16)                                        // 0000000045D0: BF8C4F70
	v_mfma_f32_16x16x32_fp8_fp8 v[88:91], a[128:129], v[200:201], v[88:91]// 0000000045D4: D3F30058 0D639180
	v_mfma_f32_16x16x32_fp8_fp8 v[88:91], a[130:131], v[202:203], v[88:91]// 0000000045DC: D3F30058 0D639582
	buffer_load_dwordx4 a[48:51], v37, s[24:27], 0 offen       // 0000000045E4: E05C1000 80863025
	v_mfma_f32_16x16x32_fp8_fp8 v[88:91], a[132:133], v[204:205], v[88:91]// 0000000045EC: D3F30058 0D639984
	v_mfma_f32_16x16x32_fp8_fp8 v[88:91], a[134:135], v[206:207], v[88:91]// 0000000045F4: D3F30058 0D639D86
	ds_read_b128 v[184:187], v2 offset:1024                    // 0000000045FC: D9FE0400 B8000002
	v_mfma_f32_16x16x32_fp8_fp8 v[88:91], a[136:137], v[208:209], v[88:91]// 000000004604: D3F30058 0D63A188
	v_mfma_f32_16x16x32_fp8_fp8 v[88:91], a[138:139], v[210:211], v[88:91]// 00000000460C: D3F30058 0D63A58A
	buffer_load_dwordx4 a[52:55], v37, s[24:27], 0 offen offset:1024// 000000004614: E05C1400 80863425
	v_mfma_f32_16x16x32_fp8_fp8 v[88:91], a[140:141], v[212:213], v[88:91]// 00000000461C: D3F30058 0D63A98C
	v_mfma_f32_16x16x32_fp8_fp8 v[88:91], a[142:143], v[214:215], v[88:91]// 000000004624: D3F30058 0D63AD8E
	ds_read_b128 v[188:191], v2 offset:1088                    // 00000000462C: D9FE0440 BC000002
	v_mfma_f32_16x16x32_fp8_fp8 v[92:95], a[128:129], v[216:217], v[92:95]// 000000004634: D3F3005C 0D73B180
	v_mfma_f32_16x16x32_fp8_fp8 v[92:95], a[130:131], v[218:219], v[92:95]// 00000000463C: D3F3005C 0D73B582
	buffer_load_dwordx4 a[56:59], v37, s[24:27], 0 offen offset:2048// 000000004644: E05C1800 80863825
	v_mfma_f32_16x16x32_fp8_fp8 v[92:95], a[132:133], v[220:221], v[92:95]// 00000000464C: D3F3005C 0D73B984
	v_mfma_f32_16x16x32_fp8_fp8 v[92:95], a[134:135], v[222:223], v[92:95]// 000000004654: D3F3005C 0D73BD86
	ds_read_b128 v[192:195], v2 offset:1152                    // 00000000465C: D9FE0480 C0000002
	v_mfma_f32_16x16x32_fp8_fp8 v[92:95], a[136:137], v[224:225], v[92:95]// 000000004664: D3F3005C 0D73C188
	v_mfma_f32_16x16x32_fp8_fp8 v[92:95], a[138:139], v[226:227], v[92:95]// 00000000466C: D3F3005C 0D73C58A
	buffer_load_dwordx4 a[60:63], v37, s[24:27], 0 offen offset:3072// 000000004674: E05C1C00 80863C25
	v_mfma_f32_16x16x32_fp8_fp8 v[92:95], a[140:141], v[228:229], v[92:95]// 00000000467C: D3F3005C 0D73C98C
	v_mfma_f32_16x16x32_fp8_fp8 v[92:95], a[142:143], v[230:231], v[92:95]// 000000004684: D3F3005C 0D73CD8E
	ds_read_b128 v[196:199], v2 offset:1216                    // 00000000468C: D9FE04C0 C4000002
	s_waitcnt vmcnt(16)                                        // 000000004694: BF8C4F70
	v_mfma_f32_16x16x32_fp8_fp8 v[96:99], a[144:145], v[200:201], v[96:99]// 000000004698: D3F30060 0D839190
	v_mfma_f32_16x16x32_fp8_fp8 v[96:99], a[146:147], v[202:203], v[96:99]// 0000000046A0: D3F30060 0D839592
	buffer_load_dwordx4 a[64:67], v38, s[24:27], 0 offen       // 0000000046A8: E05C1000 80864026
	v_mfma_f32_16x16x32_fp8_fp8 v[96:99], a[148:149], v[204:205], v[96:99]// 0000000046B0: D3F30060 0D839994
	v_mfma_f32_16x16x32_fp8_fp8 v[96:99], a[150:151], v[206:207], v[96:99]// 0000000046B8: D3F30060 0D839D96
	v_mfma_f32_16x16x32_fp8_fp8 v[96:99], a[152:153], v[208:209], v[96:99]// 0000000046C0: D3F30060 0D83A198
	v_mfma_f32_16x16x32_fp8_fp8 v[96:99], a[154:155], v[210:211], v[96:99]// 0000000046C8: D3F30060 0D83A59A
	buffer_load_dwordx4 a[68:71], v38, s[24:27], 0 offen offset:1024// 0000000046D0: E05C1400 80864426
	v_mfma_f32_16x16x32_fp8_fp8 v[96:99], a[156:157], v[212:213], v[96:99]// 0000000046D8: D3F30060 0D83A99C
	v_mfma_f32_16x16x32_fp8_fp8 v[96:99], a[158:159], v[214:215], v[96:99]// 0000000046E0: D3F30060 0D83AD9E
	v_mfma_f32_16x16x32_fp8_fp8 v[100:103], a[144:145], v[216:217], v[100:103]// 0000000046E8: D3F30064 0D93B190
	v_mfma_f32_16x16x32_fp8_fp8 v[100:103], a[146:147], v[218:219], v[100:103]// 0000000046F0: D3F30064 0D93B592
	buffer_load_dwordx4 a[72:75], v38, s[24:27], 0 offen offset:2048// 0000000046F8: E05C1800 80864826
	v_mfma_f32_16x16x32_fp8_fp8 v[100:103], a[148:149], v[220:221], v[100:103]// 000000004700: D3F30064 0D93B994
	v_mfma_f32_16x16x32_fp8_fp8 v[100:103], a[150:151], v[222:223], v[100:103]// 000000004708: D3F30064 0D93BD96
	v_mfma_f32_16x16x32_fp8_fp8 v[100:103], a[152:153], v[224:225], v[100:103]// 000000004710: D3F30064 0D93C198
	v_mfma_f32_16x16x32_fp8_fp8 v[100:103], a[154:155], v[226:227], v[100:103]// 000000004718: D3F30064 0D93C59A
	buffer_load_dwordx4 a[76:79], v38, s[24:27], 0 offen offset:3072// 000000004720: E05C1C00 80864C26
	v_mfma_f32_16x16x32_fp8_fp8 v[100:103], a[156:157], v[228:229], v[100:103]// 000000004728: D3F30064 0D93C99C
	v_mfma_f32_16x16x32_fp8_fp8 v[100:103], a[158:159], v[230:231], v[100:103]// 000000004730: D3F30064 0D93CD9E
	s_add_u32 s60, 0x200, s80                                  // 000000004738: 803C50FF 00000200
	s_cmp_lt_u32 s60, s81                                      // 000000004740: BF0A513C
	s_cselect_b32 s57, s57, 0                                  // 000000004744: 85398039
	s_add_u32 s60, 0x200, s80                                  // 000000004748: 803C50FF 00000200
	s_cmp_lt_u32 s60, s81                                      // 000000004750: BF0A513C
	s_cselect_b32 s58, s58, 0                                  // 000000004754: 853A803A
	s_add_u32 s20, s57, s20                                    // 000000004758: 80141439
	s_addc_u32 s21, 0, s21                                     // 00000000475C: 82151580
	s_add_u32 s24, s58, s24                                    // 000000004760: 8018183A
	s_addc_u32 s25, 0, s25                                     // 000000004764: 82191980
	s_add_u32 s92, s90, s92                                    // 000000004768: 805C5C5A
	s_addc_u32 s93, 0, s93                                     // 00000000476C: 825D5D80
	s_addk_i32 s80, 0x100                                      // 000000004770: B7500100
	s_cmp_lt_i32 s80, s81                                      // 000000004774: BF045150
	s_cbranch_scc0 label_0660                                  // 000000004778: BF840001
	s_branch label_02AB                                        // 00000000477C: BF82FC4B

0000000000004780 <label_0660>:
	s_mov_b32 s36, -1                                          // 000000004780: BEA400C1
	s_mov_b32 s37, -1                                          // 000000004784: BEA500C1
	s_mov_b64 s[60:61], 0                                      // 000000004788: BEBC0180
	s_cmp_lt_u32 s82, s66                                      // 00000000478C: BF0A4252
	s_cselect_b64 s[20:21], s[36:37], s[60:61]                 // 000000004790: 85943C24
	s_cmp_lt_u32 s83, s66                                      // 000000004794: BF0A4253
	s_cselect_b64 s[22:23], s[36:37], s[60:61]                 // 000000004798: 85963C24
	s_cmp_lt_u32 s84, s66                                      // 00000000479C: BF0A4254
	s_cselect_b64 s[24:25], s[36:37], s[60:61]                 // 0000000047A0: 85983C24
	s_cmp_lt_u32 s85, s66                                      // 0000000047A4: BF0A4255
	s_cselect_b64 s[26:27], s[36:37], s[60:61]                 // 0000000047A8: 859A3C24
	s_cmp_lt_u32 s86, s66                                      // 0000000047AC: BF0A4256
	s_cselect_b64 s[28:29], s[36:37], s[60:61]                 // 0000000047B0: 859C3C24
	s_cmp_lt_u32 s87, s66                                      // 0000000047B4: BF0A4257
	s_cselect_b64 s[30:31], s[36:37], s[60:61]                 // 0000000047B8: 859E3C24
	s_cmp_lt_u32 s88, s66                                      // 0000000047BC: BF0A4258
	s_cselect_b64 s[32:33], s[36:37], s[60:61]                 // 0000000047C0: 85A03C24
	s_cmp_lt_u32 s89, s66                                      // 0000000047C4: BF0A4259
	s_cselect_b64 s[34:35], s[36:37], s[60:61]                 // 0000000047C8: 85A23C24
	v_mul_f32_e32 v128, v14, v128                              // 0000000047CC: 0B01010E
	v_mul_f32_e32 v129, v14, v129                              // 0000000047D0: 0B03030E
	v_mul_f32_e32 v130, v14, v130                              // 0000000047D4: 0B05050E
	v_mul_f32_e32 v131, v14, v131                              // 0000000047D8: 0B07070E
	v_mul_f32_dpp v128, v16, v128 row_newbcast:0 row_mask:0xf bank_mask:0xf// 0000000047DC: 0B0100FA FF015010
	v_mul_f32_dpp v129, v16, v129 row_newbcast:1 row_mask:0xf bank_mask:0xf// 0000000047E4: 0B0302FA FF015110
	v_mul_f32_dpp v130, v16, v130 row_newbcast:2 row_mask:0xf bank_mask:0xf// 0000000047EC: 0B0504FA FF015210
	v_mul_f32_dpp v131, v16, v131 row_newbcast:3 row_mask:0xf bank_mask:0xf// 0000000047F4: 0B0706FA FF015310
	v_mul_f32_e32 v132, v15, v132                              // 0000000047FC: 0B09090F
	v_mul_f32_e32 v133, v15, v133                              // 000000004800: 0B0B0B0F
	v_mul_f32_e32 v134, v15, v134                              // 000000004804: 0B0D0D0F
	v_mul_f32_e32 v135, v15, v135                              // 000000004808: 0B0F0F0F
	v_mul_f32_dpp v132, v16, v132 row_newbcast:0 row_mask:0xf bank_mask:0xf// 00000000480C: 0B0908FA FF015010
	v_mul_f32_dpp v133, v16, v133 row_newbcast:1 row_mask:0xf bank_mask:0xf// 000000004814: 0B0B0AFA FF015110
	v_mul_f32_dpp v134, v16, v134 row_newbcast:2 row_mask:0xf bank_mask:0xf// 00000000481C: 0B0D0CFA FF015210
	v_mul_f32_dpp v135, v16, v135 row_newbcast:3 row_mask:0xf bank_mask:0xf// 000000004824: 0B0F0EFA FF015310
	v_mul_f32_e32 v136, v14, v136                              // 00000000482C: 0B11110E
	v_mul_f32_e32 v137, v14, v137                              // 000000004830: 0B13130E
	v_mul_f32_e32 v138, v14, v138                              // 000000004834: 0B15150E
	v_mul_f32_e32 v139, v14, v139                              // 000000004838: 0B17170E
	v_mul_f32_dpp v136, v16, v136 row_newbcast:4 row_mask:0xf bank_mask:0xf// 00000000483C: 0B1110FA FF015410
	v_mul_f32_dpp v137, v16, v137 row_newbcast:5 row_mask:0xf bank_mask:0xf// 000000004844: 0B1312FA FF015510
	v_mul_f32_dpp v138, v16, v138 row_newbcast:6 row_mask:0xf bank_mask:0xf// 00000000484C: 0B1514FA FF015610
	v_mul_f32_dpp v139, v16, v139 row_newbcast:7 row_mask:0xf bank_mask:0xf// 000000004854: 0B1716FA FF015710
	v_mul_f32_e32 v140, v15, v140                              // 00000000485C: 0B19190F
	v_mul_f32_e32 v141, v15, v141                              // 000000004860: 0B1B1B0F
	v_mul_f32_e32 v142, v15, v142                              // 000000004864: 0B1D1D0F
	v_mul_f32_e32 v143, v15, v143                              // 000000004868: 0B1F1F0F
	v_mul_f32_dpp v140, v16, v140 row_newbcast:4 row_mask:0xf bank_mask:0xf// 00000000486C: 0B1918FA FF015410
	v_mul_f32_dpp v141, v16, v141 row_newbcast:5 row_mask:0xf bank_mask:0xf// 000000004874: 0B1B1AFA FF015510
	v_mul_f32_dpp v142, v16, v142 row_newbcast:6 row_mask:0xf bank_mask:0xf// 00000000487C: 0B1D1CFA FF015610
	v_mul_f32_dpp v143, v16, v143 row_newbcast:7 row_mask:0xf bank_mask:0xf// 000000004884: 0B1F1EFA FF015710
	v_mul_f32_e32 v144, v14, v144                              // 00000000488C: 0B21210E
	v_mul_f32_e32 v145, v14, v145                              // 000000004890: 0B23230E
	v_mul_f32_e32 v146, v14, v146                              // 000000004894: 0B25250E
	v_mul_f32_e32 v147, v14, v147                              // 000000004898: 0B27270E
	v_mul_f32_dpp v144, v16, v144 row_newbcast:8 row_mask:0xf bank_mask:0xf// 00000000489C: 0B2120FA FF015810
	v_mul_f32_dpp v145, v16, v145 row_newbcast:9 row_mask:0xf bank_mask:0xf// 0000000048A4: 0B2322FA FF015910
	v_mul_f32_dpp v146, v16, v146 row_newbcast:10 row_mask:0xf bank_mask:0xf// 0000000048AC: 0B2524FA FF015A10
	v_mul_f32_dpp v147, v16, v147 row_newbcast:11 row_mask:0xf bank_mask:0xf// 0000000048B4: 0B2726FA FF015B10
	v_mul_f32_e32 v148, v15, v148                              // 0000000048BC: 0B29290F
	v_mul_f32_e32 v149, v15, v149                              // 0000000048C0: 0B2B2B0F
	v_mul_f32_e32 v150, v15, v150                              // 0000000048C4: 0B2D2D0F
	v_mul_f32_e32 v151, v15, v151                              // 0000000048C8: 0B2F2F0F
	v_mul_f32_dpp v148, v16, v148 row_newbcast:8 row_mask:0xf bank_mask:0xf// 0000000048CC: 0B2928FA FF015810
	v_mul_f32_dpp v149, v16, v149 row_newbcast:9 row_mask:0xf bank_mask:0xf// 0000000048D4: 0B2B2AFA FF015910
	v_mul_f32_dpp v150, v16, v150 row_newbcast:10 row_mask:0xf bank_mask:0xf// 0000000048DC: 0B2D2CFA FF015A10
	v_mul_f32_dpp v151, v16, v151 row_newbcast:11 row_mask:0xf bank_mask:0xf// 0000000048E4: 0B2F2EFA FF015B10
	v_mul_f32_e32 v152, v14, v152                              // 0000000048EC: 0B31310E
	v_mul_f32_e32 v153, v14, v153                              // 0000000048F0: 0B33330E
	v_mul_f32_e32 v154, v14, v154                              // 0000000048F4: 0B35350E
	v_mul_f32_e32 v155, v14, v155                              // 0000000048F8: 0B37370E
	v_mul_f32_dpp v152, v16, v152 row_newbcast:12 row_mask:0xf bank_mask:0xf// 0000000048FC: 0B3130FA FF015C10
	v_mul_f32_dpp v153, v16, v153 row_newbcast:13 row_mask:0xf bank_mask:0xf// 000000004904: 0B3332FA FF015D10
	v_mul_f32_dpp v154, v16, v154 row_newbcast:14 row_mask:0xf bank_mask:0xf// 00000000490C: 0B3534FA FF015E10
	v_mul_f32_dpp v155, v16, v155 row_newbcast:15 row_mask:0xf bank_mask:0xf// 000000004914: 0B3736FA FF015F10
	v_mul_f32_e32 v156, v15, v156                              // 00000000491C: 0B39390F
	v_mul_f32_e32 v157, v15, v157                              // 000000004920: 0B3B3B0F
	v_mul_f32_e32 v158, v15, v158                              // 000000004924: 0B3D3D0F
	v_mul_f32_e32 v159, v15, v159                              // 000000004928: 0B3F3F0F
	v_mul_f32_dpp v156, v16, v156 row_newbcast:12 row_mask:0xf bank_mask:0xf// 00000000492C: 0B3938FA FF015C10
	v_mul_f32_dpp v157, v16, v157 row_newbcast:13 row_mask:0xf bank_mask:0xf// 000000004934: 0B3B3AFA FF015D10
	v_mul_f32_dpp v158, v16, v158 row_newbcast:14 row_mask:0xf bank_mask:0xf// 00000000493C: 0B3D3CFA FF015E10
	v_mul_f32_dpp v159, v16, v159 row_newbcast:15 row_mask:0xf bank_mask:0xf// 000000004944: 0B3F3EFA FF015F10
	v_mul_f32_e32 v160, v14, v160                              // 00000000494C: 0B41410E
	v_mul_f32_e32 v161, v14, v161                              // 000000004950: 0B43430E
	v_mul_f32_e32 v162, v14, v162                              // 000000004954: 0B45450E
	v_mul_f32_e32 v163, v14, v163                              // 000000004958: 0B47470E
	v_mul_f32_dpp v160, v17, v160 row_newbcast:0 row_mask:0xf bank_mask:0xf// 00000000495C: 0B4140FA FF015011
	v_mul_f32_dpp v161, v17, v161 row_newbcast:1 row_mask:0xf bank_mask:0xf// 000000004964: 0B4342FA FF015111
	v_mul_f32_dpp v162, v17, v162 row_newbcast:2 row_mask:0xf bank_mask:0xf// 00000000496C: 0B4544FA FF015211
	v_mul_f32_dpp v163, v17, v163 row_newbcast:3 row_mask:0xf bank_mask:0xf// 000000004974: 0B4746FA FF015311
	v_mul_f32_e32 v164, v15, v164                              // 00000000497C: 0B49490F
	v_mul_f32_e32 v165, v15, v165                              // 000000004980: 0B4B4B0F
	v_mul_f32_e32 v166, v15, v166                              // 000000004984: 0B4D4D0F
	v_mul_f32_e32 v167, v15, v167                              // 000000004988: 0B4F4F0F
	v_mul_f32_dpp v164, v17, v164 row_newbcast:0 row_mask:0xf bank_mask:0xf// 00000000498C: 0B4948FA FF015011
	v_mul_f32_dpp v165, v17, v165 row_newbcast:1 row_mask:0xf bank_mask:0xf// 000000004994: 0B4B4AFA FF015111
	v_mul_f32_dpp v166, v17, v166 row_newbcast:2 row_mask:0xf bank_mask:0xf// 00000000499C: 0B4D4CFA FF015211
	v_mul_f32_dpp v167, v17, v167 row_newbcast:3 row_mask:0xf bank_mask:0xf// 0000000049A4: 0B4F4EFA FF015311
	v_mul_f32_e32 v64, v14, v64                                // 0000000049AC: 0A80810E
	v_mul_f32_e32 v65, v14, v65                                // 0000000049B0: 0A82830E
	v_mul_f32_e32 v66, v14, v66                                // 0000000049B4: 0A84850E
	v_mul_f32_e32 v67, v14, v67                                // 0000000049B8: 0A86870E
	v_mul_f32_dpp v64, v47, v64 row_newbcast:0 row_mask:0xf bank_mask:0xf// 0000000049BC: 0A8080FA FF01502F
	v_mul_f32_dpp v65, v47, v65 row_newbcast:1 row_mask:0xf bank_mask:0xf// 0000000049C4: 0A8282FA FF01512F
	v_mul_f32_dpp v66, v47, v66 row_newbcast:2 row_mask:0xf bank_mask:0xf// 0000000049CC: 0A8484FA FF01522F
	v_mul_f32_dpp v67, v47, v67 row_newbcast:3 row_mask:0xf bank_mask:0xf// 0000000049D4: 0A8686FA FF01532F
	v_mul_f32_e32 v68, v15, v68                                // 0000000049DC: 0A88890F
	v_mul_f32_e32 v69, v15, v69                                // 0000000049E0: 0A8A8B0F
	v_mul_f32_e32 v70, v15, v70                                // 0000000049E4: 0A8C8D0F
	v_mul_f32_e32 v71, v15, v71                                // 0000000049E8: 0A8E8F0F
	v_mul_f32_dpp v68, v47, v68 row_newbcast:0 row_mask:0xf bank_mask:0xf// 0000000049EC: 0A8888FA FF01502F
	v_mul_f32_dpp v69, v47, v69 row_newbcast:1 row_mask:0xf bank_mask:0xf// 0000000049F4: 0A8A8AFA FF01512F
	v_mul_f32_dpp v70, v47, v70 row_newbcast:2 row_mask:0xf bank_mask:0xf// 0000000049FC: 0A8C8CFA FF01522F
	v_mul_f32_dpp v71, v47, v71 row_newbcast:3 row_mask:0xf bank_mask:0xf// 000000004A04: 0A8E8EFA FF01532F
	v_mul_f32_e32 v72, v14, v72                                // 000000004A0C: 0A90910E
	v_mul_f32_e32 v73, v14, v73                                // 000000004A10: 0A92930E
	v_mul_f32_e32 v74, v14, v74                                // 000000004A14: 0A94950E
	v_mul_f32_e32 v75, v14, v75                                // 000000004A18: 0A96970E
	v_mul_f32_dpp v72, v47, v72 row_newbcast:4 row_mask:0xf bank_mask:0xf// 000000004A1C: 0A9090FA FF01542F
	v_mul_f32_dpp v73, v47, v73 row_newbcast:5 row_mask:0xf bank_mask:0xf// 000000004A24: 0A9292FA FF01552F
	v_mul_f32_dpp v74, v47, v74 row_newbcast:6 row_mask:0xf bank_mask:0xf// 000000004A2C: 0A9494FA FF01562F
	v_mul_f32_dpp v75, v47, v75 row_newbcast:7 row_mask:0xf bank_mask:0xf// 000000004A34: 0A9696FA FF01572F
	v_mul_f32_e32 v76, v15, v76                                // 000000004A3C: 0A98990F
	v_mul_f32_e32 v77, v15, v77                                // 000000004A40: 0A9A9B0F
	v_mul_f32_e32 v78, v15, v78                                // 000000004A44: 0A9C9D0F
	v_mul_f32_e32 v79, v15, v79                                // 000000004A48: 0A9E9F0F
	v_mul_f32_dpp v76, v47, v76 row_newbcast:4 row_mask:0xf bank_mask:0xf// 000000004A4C: 0A9898FA FF01542F
	v_mul_f32_dpp v77, v47, v77 row_newbcast:5 row_mask:0xf bank_mask:0xf// 000000004A54: 0A9A9AFA FF01552F
	v_mul_f32_dpp v78, v47, v78 row_newbcast:6 row_mask:0xf bank_mask:0xf// 000000004A5C: 0A9C9CFA FF01562F
	v_mul_f32_dpp v79, v47, v79 row_newbcast:7 row_mask:0xf bank_mask:0xf// 000000004A64: 0A9E9EFA FF01572F
	v_mul_f32_e32 v80, v14, v80                                // 000000004A6C: 0AA0A10E
	v_mul_f32_e32 v81, v14, v81                                // 000000004A70: 0AA2A30E
	v_mul_f32_e32 v82, v14, v82                                // 000000004A74: 0AA4A50E
	v_mul_f32_e32 v83, v14, v83                                // 000000004A78: 0AA6A70E
	v_mul_f32_dpp v80, v47, v80 row_newbcast:8 row_mask:0xf bank_mask:0xf// 000000004A7C: 0AA0A0FA FF01582F
	v_mul_f32_dpp v81, v47, v81 row_newbcast:9 row_mask:0xf bank_mask:0xf// 000000004A84: 0AA2A2FA FF01592F
	v_mul_f32_dpp v82, v47, v82 row_newbcast:10 row_mask:0xf bank_mask:0xf// 000000004A8C: 0AA4A4FA FF015A2F
	v_mul_f32_dpp v83, v47, v83 row_newbcast:11 row_mask:0xf bank_mask:0xf// 000000004A94: 0AA6A6FA FF015B2F
	v_mul_f32_e32 v84, v15, v84                                // 000000004A9C: 0AA8A90F
	v_mul_f32_e32 v85, v15, v85                                // 000000004AA0: 0AAAAB0F
	v_mul_f32_e32 v86, v15, v86                                // 000000004AA4: 0AACAD0F
	v_mul_f32_e32 v87, v15, v87                                // 000000004AA8: 0AAEAF0F
	v_mul_f32_dpp v84, v47, v84 row_newbcast:8 row_mask:0xf bank_mask:0xf// 000000004AAC: 0AA8A8FA FF01582F
	v_mul_f32_dpp v85, v47, v85 row_newbcast:9 row_mask:0xf bank_mask:0xf// 000000004AB4: 0AAAAAFA FF01592F
	v_mul_f32_dpp v86, v47, v86 row_newbcast:10 row_mask:0xf bank_mask:0xf// 000000004ABC: 0AACACFA FF015A2F
	v_mul_f32_dpp v87, v47, v87 row_newbcast:11 row_mask:0xf bank_mask:0xf// 000000004AC4: 0AAEAEFA FF015B2F
	v_mul_f32_e32 v88, v14, v88                                // 000000004ACC: 0AB0B10E
	v_mul_f32_e32 v89, v14, v89                                // 000000004AD0: 0AB2B30E
	v_mul_f32_e32 v90, v14, v90                                // 000000004AD4: 0AB4B50E
	v_mul_f32_e32 v91, v14, v91                                // 000000004AD8: 0AB6B70E
	v_mul_f32_dpp v88, v47, v88 row_newbcast:12 row_mask:0xf bank_mask:0xf// 000000004ADC: 0AB0B0FA FF015C2F
	v_mul_f32_dpp v89, v47, v89 row_newbcast:13 row_mask:0xf bank_mask:0xf// 000000004AE4: 0AB2B2FA FF015D2F
	v_mul_f32_dpp v90, v47, v90 row_newbcast:14 row_mask:0xf bank_mask:0xf// 000000004AEC: 0AB4B4FA FF015E2F
	v_mul_f32_dpp v91, v47, v91 row_newbcast:15 row_mask:0xf bank_mask:0xf// 000000004AF4: 0AB6B6FA FF015F2F
	v_mul_f32_e32 v92, v15, v92                                // 000000004AFC: 0AB8B90F
	v_mul_f32_e32 v93, v15, v93                                // 000000004B00: 0ABABB0F
	v_mul_f32_e32 v94, v15, v94                                // 000000004B04: 0ABCBD0F
	v_mul_f32_e32 v95, v15, v95                                // 000000004B08: 0ABEBF0F
	v_mul_f32_dpp v92, v47, v92 row_newbcast:12 row_mask:0xf bank_mask:0xf// 000000004B0C: 0AB8B8FA FF015C2F
	v_mul_f32_dpp v93, v47, v93 row_newbcast:13 row_mask:0xf bank_mask:0xf// 000000004B14: 0ABABAFA FF015D2F
	v_mul_f32_dpp v94, v47, v94 row_newbcast:14 row_mask:0xf bank_mask:0xf// 000000004B1C: 0ABCBCFA FF015E2F
	v_mul_f32_dpp v95, v47, v95 row_newbcast:15 row_mask:0xf bank_mask:0xf// 000000004B24: 0ABEBEFA FF015F2F
	v_mul_f32_e32 v96, v14, v96                                // 000000004B2C: 0AC0C10E
	v_mul_f32_e32 v97, v14, v97                                // 000000004B30: 0AC2C30E
	v_mul_f32_e32 v98, v14, v98                                // 000000004B34: 0AC4C50E
	v_mul_f32_e32 v99, v14, v99                                // 000000004B38: 0AC6C70E
	v_mul_f32_dpp v96, v48, v96 row_newbcast:0 row_mask:0xf bank_mask:0xf// 000000004B3C: 0AC0C0FA FF015030
	v_mul_f32_dpp v97, v48, v97 row_newbcast:1 row_mask:0xf bank_mask:0xf// 000000004B44: 0AC2C2FA FF015130
	v_mul_f32_dpp v98, v48, v98 row_newbcast:2 row_mask:0xf bank_mask:0xf// 000000004B4C: 0AC4C4FA FF015230
	v_mul_f32_dpp v99, v48, v99 row_newbcast:3 row_mask:0xf bank_mask:0xf// 000000004B54: 0AC6C6FA FF015330
	v_mul_f32_e32 v100, v15, v100                              // 000000004B5C: 0AC8C90F
	v_mul_f32_e32 v101, v15, v101                              // 000000004B60: 0ACACB0F
	v_mul_f32_e32 v102, v15, v102                              // 000000004B64: 0ACCCD0F
	v_mul_f32_e32 v103, v15, v103                              // 000000004B68: 0ACECF0F
	v_mul_f32_dpp v100, v48, v100 row_newbcast:0 row_mask:0xf bank_mask:0xf// 000000004B6C: 0AC8C8FA FF015030
	v_mul_f32_dpp v101, v48, v101 row_newbcast:1 row_mask:0xf bank_mask:0xf// 000000004B74: 0ACACAFA FF015130
	v_mul_f32_dpp v102, v48, v102 row_newbcast:2 row_mask:0xf bank_mask:0xf// 000000004B7C: 0ACCCCFA FF015230
	v_mul_f32_dpp v103, v48, v103 row_newbcast:3 row_mask:0xf bank_mask:0xf// 000000004B84: 0ACECEFA FF015330
	s_waitcnt vmcnt(16)                                        // 000000004B8C: BF8C4F70
	buffer_load_dwordx4 a[0:3], v39, s[12:15], 0 offen         // 000000004B90: E05C1000 80830027
	v_mul_f32_e64 v50, -v128, s6                               // 000000004B98: D1050032 20000D80
	v_mul_f32_e64 v51, -v129, s6                               // 000000004BA0: D1050033 20000D81
	v_mul_f32_e64 v52, -v130, s6                               // 000000004BA8: D1050034 20000D82
	v_mul_f32_e64 v53, -v131, s6                               // 000000004BB0: D1050035 20000D83
	v_exp_f32_e32 v50, v50                                     // 000000004BB8: 7E644132
	v_exp_f32_e32 v51, v51                                     // 000000004BBC: 7E664133
	v_exp_f32_e32 v52, v52                                     // 000000004BC0: 7E684134
	v_exp_f32_e32 v53, v53                                     // 000000004BC4: 7E6A4135
	buffer_load_dwordx4 a[4:7], v40, s[12:15], 0 offen         // 000000004BC8: E05C1000 80830428
	v_add_f32_e64 v50, v50, 1.0                                // 000000004BD0: D1010032 0001E532
	v_add_f32_e64 v51, v51, 1.0                                // 000000004BD8: D1010033 0001E533
	v_add_f32_e64 v52, v52, 1.0                                // 000000004BE0: D1010034 0001E534
	v_add_f32_e64 v53, v53, 1.0                                // 000000004BE8: D1010035 0001E535
	v_rcp_f32_e32 v50, v50                                     // 000000004BF0: 7E644532
	v_rcp_f32_e32 v51, v51                                     // 000000004BF4: 7E664533
	v_rcp_f32_e32 v52, v52                                     // 000000004BF8: 7E684534
	v_rcp_f32_e32 v53, v53                                     // 000000004BFC: 7E6A4535
	v_mul_f32_e32 v128, v128, v50                              // 000000004C00: 0B006580
	v_mul_f32_e32 v129, v129, v51                              // 000000004C04: 0B026781
	v_mul_f32_e32 v130, v130, v52                              // 000000004C08: 0B046982
	v_mul_f32_e32 v131, v131, v53                              // 000000004C0C: 0B066B83
	v_mul_f32_e32 v128, v128, v64                              // 000000004C10: 0B008180
	v_mul_f32_e32 v129, v129, v65                              // 000000004C14: 0B028381
	v_mul_f32_e32 v130, v130, v66                              // 000000004C18: 0B048582
	v_mul_f32_e32 v131, v131, v67                              // 000000004C1C: 0B068783
	buffer_load_dwordx4 a[8:11], v41, s[12:15], 0 offen        // 000000004C20: E05C1000 80830829
	v_mul_f32_e64 v50, -v132, s6                               // 000000004C28: D1050032 20000D84
	v_mul_f32_e64 v51, -v133, s6                               // 000000004C30: D1050033 20000D85
	v_mul_f32_e64 v52, -v134, s6                               // 000000004C38: D1050034 20000D86
	v_mul_f32_e64 v53, -v135, s6                               // 000000004C40: D1050035 20000D87
	v_exp_f32_e32 v50, v50                                     // 000000004C48: 7E644132
	v_exp_f32_e32 v51, v51                                     // 000000004C4C: 7E664133
	v_exp_f32_e32 v52, v52                                     // 000000004C50: 7E684134
	v_exp_f32_e32 v53, v53                                     // 000000004C54: 7E6A4135
	buffer_load_dwordx4 a[12:15], v42, s[12:15], 0 offen       // 000000004C58: E05C1000 80830C2A
	s_add_u32 s12, s78, s12                                    // 000000004C60: 800C0C4E
	s_addc_u32 s13, 0, s13                                     // 000000004C64: 820D0D80
	v_add_f32_e64 v50, v50, 1.0                                // 000000004C68: D1010032 0001E532
	v_add_f32_e64 v51, v51, 1.0                                // 000000004C70: D1010033 0001E533
	v_add_f32_e64 v52, v52, 1.0                                // 000000004C78: D1010034 0001E534
	v_add_f32_e64 v53, v53, 1.0                                // 000000004C80: D1010035 0001E535
	v_rcp_f32_e32 v50, v50                                     // 000000004C88: 7E644532
	v_rcp_f32_e32 v51, v51                                     // 000000004C8C: 7E664533
	v_rcp_f32_e32 v52, v52                                     // 000000004C90: 7E684534
	v_rcp_f32_e32 v53, v53                                     // 000000004C94: 7E6A4535
	v_mul_f32_e32 v132, v132, v50                              // 000000004C98: 0B086584
	v_mul_f32_e32 v133, v133, v51                              // 000000004C9C: 0B0A6785
	v_mul_f32_e32 v134, v134, v52                              // 000000004CA0: 0B0C6986
	v_mul_f32_e32 v135, v135, v53                              // 000000004CA4: 0B0E6B87
	v_mul_f32_e32 v132, v132, v68                              // 000000004CA8: 0B088984
	v_mul_f32_e32 v133, v133, v69                              // 000000004CAC: 0B0A8B85
	v_mul_f32_e32 v134, v134, v70                              // 000000004CB0: 0B0C8D86
	v_mul_f32_e32 v135, v135, v71                              // 000000004CB4: 0B0E8F87
	s_waitcnt vmcnt(16)                                        // 000000004CB8: BF8C4F70
	buffer_load_dwordx4 a[16:19], v39, s[12:15], 0 offen       // 000000004CBC: E05C1000 80831027
	v_mul_f32_e64 v50, -v136, s6                               // 000000004CC4: D1050032 20000D88
	v_mul_f32_e64 v51, -v137, s6                               // 000000004CCC: D1050033 20000D89
	v_mul_f32_e64 v52, -v138, s6                               // 000000004CD4: D1050034 20000D8A
	v_mul_f32_e64 v53, -v139, s6                               // 000000004CDC: D1050035 20000D8B
	v_exp_f32_e32 v50, v50                                     // 000000004CE4: 7E644132
	v_exp_f32_e32 v51, v51                                     // 000000004CE8: 7E664133
	v_exp_f32_e32 v52, v52                                     // 000000004CEC: 7E684134
	v_exp_f32_e32 v53, v53                                     // 000000004CF0: 7E6A4135
	buffer_load_dwordx4 a[20:23], v40, s[12:15], 0 offen       // 000000004CF4: E05C1000 80831428
	v_add_f32_e64 v50, v50, 1.0                                // 000000004CFC: D1010032 0001E532
	v_add_f32_e64 v51, v51, 1.0                                // 000000004D04: D1010033 0001E533
	v_add_f32_e64 v52, v52, 1.0                                // 000000004D0C: D1010034 0001E534
	v_add_f32_e64 v53, v53, 1.0                                // 000000004D14: D1010035 0001E535
	v_rcp_f32_e32 v50, v50                                     // 000000004D1C: 7E644532
	v_rcp_f32_e32 v51, v51                                     // 000000004D20: 7E664533
	v_rcp_f32_e32 v52, v52                                     // 000000004D24: 7E684534
	v_rcp_f32_e32 v53, v53                                     // 000000004D28: 7E6A4535
	v_mul_f32_e32 v136, v136, v50                              // 000000004D2C: 0B106588
	v_mul_f32_e32 v137, v137, v51                              // 000000004D30: 0B126789
	v_mul_f32_e32 v138, v138, v52                              // 000000004D34: 0B14698A
	v_mul_f32_e32 v139, v139, v53                              // 000000004D38: 0B166B8B
	v_mul_f32_e32 v136, v136, v72                              // 000000004D3C: 0B109188
	v_mul_f32_e32 v137, v137, v73                              // 000000004D40: 0B129389
	v_mul_f32_e32 v138, v138, v74                              // 000000004D44: 0B14958A
	v_mul_f32_e32 v139, v139, v75                              // 000000004D48: 0B16978B
	buffer_load_dwordx4 a[24:27], v41, s[12:15], 0 offen       // 000000004D4C: E05C1000 80831829
	v_mul_f32_e64 v50, -v140, s6                               // 000000004D54: D1050032 20000D8C
	v_mul_f32_e64 v51, -v141, s6                               // 000000004D5C: D1050033 20000D8D
	v_mul_f32_e64 v52, -v142, s6                               // 000000004D64: D1050034 20000D8E
	v_mul_f32_e64 v53, -v143, s6                               // 000000004D6C: D1050035 20000D8F
	v_exp_f32_e32 v50, v50                                     // 000000004D74: 7E644132
	v_exp_f32_e32 v51, v51                                     // 000000004D78: 7E664133
	v_exp_f32_e32 v52, v52                                     // 000000004D7C: 7E684134
	v_exp_f32_e32 v53, v53                                     // 000000004D80: 7E6A4135
	buffer_load_dwordx4 a[28:31], v42, s[12:15], 0 offen       // 000000004D84: E05C1000 80831C2A
	s_add_u32 s12, s78, s12                                    // 000000004D8C: 800C0C4E
	s_addc_u32 s13, 0, s13                                     // 000000004D90: 820D0D80
	v_add_f32_e64 v50, v50, 1.0                                // 000000004D94: D1010032 0001E532
	v_add_f32_e64 v51, v51, 1.0                                // 000000004D9C: D1010033 0001E533
	v_add_f32_e64 v52, v52, 1.0                                // 000000004DA4: D1010034 0001E534
	v_add_f32_e64 v53, v53, 1.0                                // 000000004DAC: D1010035 0001E535
	v_rcp_f32_e32 v50, v50                                     // 000000004DB4: 7E644532
	v_rcp_f32_e32 v51, v51                                     // 000000004DB8: 7E664533
	v_rcp_f32_e32 v52, v52                                     // 000000004DBC: 7E684534
	v_rcp_f32_e32 v53, v53                                     // 000000004DC0: 7E6A4535
	v_mul_f32_e32 v140, v140, v50                              // 000000004DC4: 0B18658C
	v_mul_f32_e32 v141, v141, v51                              // 000000004DC8: 0B1A678D
	v_mul_f32_e32 v142, v142, v52                              // 000000004DCC: 0B1C698E
	v_mul_f32_e32 v143, v143, v53                              // 000000004DD0: 0B1E6B8F
	v_mul_f32_e32 v140, v140, v76                              // 000000004DD4: 0B18998C
	v_mul_f32_e32 v141, v141, v77                              // 000000004DD8: 0B1A9B8D
	v_mul_f32_e32 v142, v142, v78                              // 000000004DDC: 0B1C9D8E
	v_mul_f32_e32 v143, v143, v79                              // 000000004DE0: 0B1E9F8F
	s_waitcnt vmcnt(16)                                        // 000000004DE4: BF8C4F70
	buffer_load_dwordx4 a[32:35], v39, s[12:15], 0 offen       // 000000004DE8: E05C1000 80832027
	v_mul_f32_e64 v50, -v144, s6                               // 000000004DF0: D1050032 20000D90
	v_mul_f32_e64 v51, -v145, s6                               // 000000004DF8: D1050033 20000D91
	v_mul_f32_e64 v52, -v146, s6                               // 000000004E00: D1050034 20000D92
	v_mul_f32_e64 v53, -v147, s6                               // 000000004E08: D1050035 20000D93
	v_exp_f32_e32 v50, v50                                     // 000000004E10: 7E644132
	v_exp_f32_e32 v51, v51                                     // 000000004E14: 7E664133
	v_exp_f32_e32 v52, v52                                     // 000000004E18: 7E684134
	v_exp_f32_e32 v53, v53                                     // 000000004E1C: 7E6A4135
	buffer_load_dwordx4 a[36:39], v40, s[12:15], 0 offen       // 000000004E20: E05C1000 80832428
	v_add_f32_e64 v50, v50, 1.0                                // 000000004E28: D1010032 0001E532
	v_add_f32_e64 v51, v51, 1.0                                // 000000004E30: D1010033 0001E533
	v_add_f32_e64 v52, v52, 1.0                                // 000000004E38: D1010034 0001E534
	v_add_f32_e64 v53, v53, 1.0                                // 000000004E40: D1010035 0001E535
	v_rcp_f32_e32 v50, v50                                     // 000000004E48: 7E644532
	v_rcp_f32_e32 v51, v51                                     // 000000004E4C: 7E664533
	v_rcp_f32_e32 v52, v52                                     // 000000004E50: 7E684534
	v_rcp_f32_e32 v53, v53                                     // 000000004E54: 7E6A4535
	v_mul_f32_e32 v144, v144, v50                              // 000000004E58: 0B206590
	v_mul_f32_e32 v145, v145, v51                              // 000000004E5C: 0B226791
	v_mul_f32_e32 v146, v146, v52                              // 000000004E60: 0B246992
	v_mul_f32_e32 v147, v147, v53                              // 000000004E64: 0B266B93
	v_mul_f32_e32 v144, v144, v80                              // 000000004E68: 0B20A190
	v_mul_f32_e32 v145, v145, v81                              // 000000004E6C: 0B22A391
	v_mul_f32_e32 v146, v146, v82                              // 000000004E70: 0B24A592
	v_mul_f32_e32 v147, v147, v83                              // 000000004E74: 0B26A793
	buffer_load_dwordx4 a[40:43], v41, s[12:15], 0 offen       // 000000004E78: E05C1000 80832829
	v_mul_f32_e64 v50, -v148, s6                               // 000000004E80: D1050032 20000D94
	v_mul_f32_e64 v51, -v149, s6                               // 000000004E88: D1050033 20000D95
	v_mul_f32_e64 v52, -v150, s6                               // 000000004E90: D1050034 20000D96
	v_mul_f32_e64 v53, -v151, s6                               // 000000004E98: D1050035 20000D97
	v_exp_f32_e32 v50, v50                                     // 000000004EA0: 7E644132
	v_exp_f32_e32 v51, v51                                     // 000000004EA4: 7E664133
	v_exp_f32_e32 v52, v52                                     // 000000004EA8: 7E684134
	v_exp_f32_e32 v53, v53                                     // 000000004EAC: 7E6A4135
	buffer_load_dwordx4 a[44:47], v42, s[12:15], 0 offen       // 000000004EB0: E05C1000 80832C2A
	s_add_u32 s12, s78, s12                                    // 000000004EB8: 800C0C4E
	s_addc_u32 s13, 0, s13                                     // 000000004EBC: 820D0D80
	v_add_f32_e64 v50, v50, 1.0                                // 000000004EC0: D1010032 0001E532
	v_add_f32_e64 v51, v51, 1.0                                // 000000004EC8: D1010033 0001E533
	v_add_f32_e64 v52, v52, 1.0                                // 000000004ED0: D1010034 0001E534
	v_add_f32_e64 v53, v53, 1.0                                // 000000004ED8: D1010035 0001E535
	v_rcp_f32_e32 v50, v50                                     // 000000004EE0: 7E644532
	v_rcp_f32_e32 v51, v51                                     // 000000004EE4: 7E664533
	v_rcp_f32_e32 v52, v52                                     // 000000004EE8: 7E684534
	v_rcp_f32_e32 v53, v53                                     // 000000004EEC: 7E6A4535
	v_mul_f32_e32 v148, v148, v50                              // 000000004EF0: 0B286594
	v_mul_f32_e32 v149, v149, v51                              // 000000004EF4: 0B2A6795
	v_mul_f32_e32 v150, v150, v52                              // 000000004EF8: 0B2C6996
	v_mul_f32_e32 v151, v151, v53                              // 000000004EFC: 0B2E6B97
	v_mul_f32_e32 v148, v148, v84                              // 000000004F00: 0B28A994
	v_mul_f32_e32 v149, v149, v85                              // 000000004F04: 0B2AAB95
	v_mul_f32_e32 v150, v150, v86                              // 000000004F08: 0B2CAD96
	v_mul_f32_e32 v151, v151, v87                              // 000000004F0C: 0B2EAF97
	s_waitcnt vmcnt(16)                                        // 000000004F10: BF8C4F70
	buffer_load_dwordx4 a[48:51], v39, s[12:15], 0 offen       // 000000004F14: E05C1000 80833027
	v_mul_f32_e64 v50, -v152, s6                               // 000000004F1C: D1050032 20000D98
	v_mul_f32_e64 v51, -v153, s6                               // 000000004F24: D1050033 20000D99
	v_mul_f32_e64 v52, -v154, s6                               // 000000004F2C: D1050034 20000D9A
	v_mul_f32_e64 v53, -v155, s6                               // 000000004F34: D1050035 20000D9B
	v_exp_f32_e32 v50, v50                                     // 000000004F3C: 7E644132
	v_exp_f32_e32 v51, v51                                     // 000000004F40: 7E664133
	v_exp_f32_e32 v52, v52                                     // 000000004F44: 7E684134
	v_exp_f32_e32 v53, v53                                     // 000000004F48: 7E6A4135
	buffer_load_dwordx4 a[52:55], v40, s[12:15], 0 offen       // 000000004F4C: E05C1000 80833428
	v_add_f32_e64 v50, v50, 1.0                                // 000000004F54: D1010032 0001E532
	v_add_f32_e64 v51, v51, 1.0                                // 000000004F5C: D1010033 0001E533
	v_add_f32_e64 v52, v52, 1.0                                // 000000004F64: D1010034 0001E534
	v_add_f32_e64 v53, v53, 1.0                                // 000000004F6C: D1010035 0001E535
	v_rcp_f32_e32 v50, v50                                     // 000000004F74: 7E644532
	v_rcp_f32_e32 v51, v51                                     // 000000004F78: 7E664533
	v_rcp_f32_e32 v52, v52                                     // 000000004F7C: 7E684534
	v_rcp_f32_e32 v53, v53                                     // 000000004F80: 7E6A4535
	v_mul_f32_e32 v152, v152, v50                              // 000000004F84: 0B306598
	v_mul_f32_e32 v153, v153, v51                              // 000000004F88: 0B326799
	v_mul_f32_e32 v154, v154, v52                              // 000000004F8C: 0B34699A
	v_mul_f32_e32 v155, v155, v53                              // 000000004F90: 0B366B9B
	v_mul_f32_e32 v152, v152, v88                              // 000000004F94: 0B30B198
	v_mul_f32_e32 v153, v153, v89                              // 000000004F98: 0B32B399
	v_mul_f32_e32 v154, v154, v90                              // 000000004F9C: 0B34B59A
	v_mul_f32_e32 v155, v155, v91                              // 000000004FA0: 0B36B79B
	buffer_load_dwordx4 a[56:59], v41, s[12:15], 0 offen       // 000000004FA4: E05C1000 80833829
	v_mul_f32_e64 v50, -v156, s6                               // 000000004FAC: D1050032 20000D9C
	v_mul_f32_e64 v51, -v157, s6                               // 000000004FB4: D1050033 20000D9D
	v_mul_f32_e64 v52, -v158, s6                               // 000000004FBC: D1050034 20000D9E
	v_mul_f32_e64 v53, -v159, s6                               // 000000004FC4: D1050035 20000D9F
	v_exp_f32_e32 v50, v50                                     // 000000004FCC: 7E644132
	v_exp_f32_e32 v51, v51                                     // 000000004FD0: 7E664133
	v_exp_f32_e32 v52, v52                                     // 000000004FD4: 7E684134
	v_exp_f32_e32 v53, v53                                     // 000000004FD8: 7E6A4135
	buffer_load_dwordx4 a[60:63], v42, s[12:15], 0 offen       // 000000004FDC: E05C1000 80833C2A
	s_add_u32 s12, s78, s12                                    // 000000004FE4: 800C0C4E
	s_addc_u32 s13, 0, s13                                     // 000000004FE8: 820D0D80
	v_add_f32_e64 v50, v50, 1.0                                // 000000004FEC: D1010032 0001E532
	v_add_f32_e64 v51, v51, 1.0                                // 000000004FF4: D1010033 0001E533
	v_add_f32_e64 v52, v52, 1.0                                // 000000004FFC: D1010034 0001E534
	v_add_f32_e64 v53, v53, 1.0                                // 000000005004: D1010035 0001E535
	v_rcp_f32_e32 v50, v50                                     // 00000000500C: 7E644532
	v_rcp_f32_e32 v51, v51                                     // 000000005010: 7E664533
	v_rcp_f32_e32 v52, v52                                     // 000000005014: 7E684534
	v_rcp_f32_e32 v53, v53                                     // 000000005018: 7E6A4535
	v_mul_f32_e32 v156, v156, v50                              // 00000000501C: 0B38659C
	v_mul_f32_e32 v157, v157, v51                              // 000000005020: 0B3A679D
	v_mul_f32_e32 v158, v158, v52                              // 000000005024: 0B3C699E
	v_mul_f32_e32 v159, v159, v53                              // 000000005028: 0B3E6B9F
	v_mul_f32_e32 v156, v156, v92                              // 00000000502C: 0B38B99C
	v_mul_f32_e32 v157, v157, v93                              // 000000005030: 0B3ABB9D
	v_mul_f32_e32 v158, v158, v94                              // 000000005034: 0B3CBD9E
	v_mul_f32_e32 v159, v159, v95                              // 000000005038: 0B3EBF9F
	s_waitcnt vmcnt(16)                                        // 00000000503C: BF8C4F70
	buffer_load_dwordx4 a[64:67], v39, s[12:15], 0 offen       // 000000005040: E05C1000 80834027
	v_mul_f32_e64 v50, -v160, s6                               // 000000005048: D1050032 20000DA0
	v_mul_f32_e64 v51, -v161, s6                               // 000000005050: D1050033 20000DA1
	v_mul_f32_e64 v52, -v162, s6                               // 000000005058: D1050034 20000DA2
	v_mul_f32_e64 v53, -v163, s6                               // 000000005060: D1050035 20000DA3
	v_exp_f32_e32 v50, v50                                     // 000000005068: 7E644132
	v_exp_f32_e32 v51, v51                                     // 00000000506C: 7E664133
	v_exp_f32_e32 v52, v52                                     // 000000005070: 7E684134
	v_exp_f32_e32 v53, v53                                     // 000000005074: 7E6A4135
	buffer_load_dwordx4 a[68:71], v40, s[12:15], 0 offen       // 000000005078: E05C1000 80834428
	v_add_f32_e64 v50, v50, 1.0                                // 000000005080: D1010032 0001E532
	v_add_f32_e64 v51, v51, 1.0                                // 000000005088: D1010033 0001E533
	v_add_f32_e64 v52, v52, 1.0                                // 000000005090: D1010034 0001E534
	v_add_f32_e64 v53, v53, 1.0                                // 000000005098: D1010035 0001E535
	v_rcp_f32_e32 v50, v50                                     // 0000000050A0: 7E644532
	v_rcp_f32_e32 v51, v51                                     // 0000000050A4: 7E664533
	v_rcp_f32_e32 v52, v52                                     // 0000000050A8: 7E684534
	v_rcp_f32_e32 v53, v53                                     // 0000000050AC: 7E6A4535
	v_mul_f32_e32 v160, v160, v50                              // 0000000050B0: 0B4065A0
	v_mul_f32_e32 v161, v161, v51                              // 0000000050B4: 0B4267A1
	v_mul_f32_e32 v162, v162, v52                              // 0000000050B8: 0B4469A2
	v_mul_f32_e32 v163, v163, v53                              // 0000000050BC: 0B466BA3
	v_mul_f32_e32 v160, v160, v96                              // 0000000050C0: 0B40C1A0
	v_mul_f32_e32 v161, v161, v97                              // 0000000050C4: 0B42C3A1
	v_mul_f32_e32 v162, v162, v98                              // 0000000050C8: 0B44C5A2
	v_mul_f32_e32 v163, v163, v99                              // 0000000050CC: 0B46C7A3
	buffer_load_dwordx4 a[72:75], v41, s[12:15], 0 offen       // 0000000050D0: E05C1000 80834829
	v_mul_f32_e64 v50, -v164, s6                               // 0000000050D8: D1050032 20000DA4
	v_mul_f32_e64 v51, -v165, s6                               // 0000000050E0: D1050033 20000DA5
	v_mul_f32_e64 v52, -v166, s6                               // 0000000050E8: D1050034 20000DA6
	v_mul_f32_e64 v53, -v167, s6                               // 0000000050F0: D1050035 20000DA7
	v_exp_f32_e32 v50, v50                                     // 0000000050F8: 7E644132
	v_exp_f32_e32 v51, v51                                     // 0000000050FC: 7E664133
	v_exp_f32_e32 v52, v52                                     // 000000005100: 7E684134
	v_exp_f32_e32 v53, v53                                     // 000000005104: 7E6A4135
	buffer_load_dwordx4 a[76:79], v42, s[12:15], 0 offen       // 000000005108: E05C1000 80834C2A
	v_add_f32_e64 v50, v50, 1.0                                // 000000005110: D1010032 0001E532
	v_add_f32_e64 v51, v51, 1.0                                // 000000005118: D1010033 0001E533
	v_add_f32_e64 v52, v52, 1.0                                // 000000005120: D1010034 0001E534
	v_add_f32_e64 v53, v53, 1.0                                // 000000005128: D1010035 0001E535
	v_rcp_f32_e32 v50, v50                                     // 000000005130: 7E644532
	v_rcp_f32_e32 v51, v51                                     // 000000005134: 7E664533
	v_rcp_f32_e32 v52, v52                                     // 000000005138: 7E684534
	v_rcp_f32_e32 v53, v53                                     // 00000000513C: 7E6A4535
	v_mul_f32_e32 v164, v164, v50                              // 000000005140: 0B4865A4
	v_mul_f32_e32 v165, v165, v51                              // 000000005144: 0B4A67A5
	v_mul_f32_e32 v166, v166, v52                              // 000000005148: 0B4C69A6
	v_mul_f32_e32 v167, v167, v53                              // 00000000514C: 0B4E6BA7
	v_mul_f32_e32 v164, v164, v100                             // 000000005150: 0B48C9A4
	v_mul_f32_e32 v165, v165, v101                             // 000000005154: 0B4ACBA5
	v_mul_f32_e32 v166, v166, v102                             // 000000005158: 0B4CCDA6
	v_mul_f32_e32 v167, v167, v103                             // 00000000515C: 0B4ECFA7
	v_lshlrev_b32_e32 v50, 2, v0                               // 000000005160: 24640082
	s_mul_i32 s60, s82, s71                                    // 000000005164: 923C4752
	v_add_u32_e64 v80, v50, s60                                // 000000005168: D1340050 00007932
	v_mov_b32_e32 v81, 0                                       // 000000005170: 7EA20280
	s_mul_i32 s60, s83, s71                                    // 000000005174: 923C4753
	v_add_u32_e64 v82, v50, s60                                // 000000005178: D1340052 00007932
	v_mov_b32_e32 v83, 0                                       // 000000005180: 7EA60280
	s_mul_i32 s60, s84, s71                                    // 000000005184: 923C4754
	v_add_u32_e64 v84, v50, s60                                // 000000005188: D1340054 00007932
	v_mov_b32_e32 v85, 0                                       // 000000005190: 7EAA0280
	s_mul_i32 s60, s85, s71                                    // 000000005194: 923C4755
	v_add_u32_e64 v86, v50, s60                                // 000000005198: D1340056 00007932
	v_mov_b32_e32 v87, 0                                       // 0000000051A0: 7EAE0280
	s_mul_i32 s60, s86, s71                                    // 0000000051A4: 923C4756
	v_add_u32_e64 v88, v50, s60                                // 0000000051A8: D1340058 00007932
	v_mov_b32_e32 v89, 0                                       // 0000000051B0: 7EB20280
	s_mul_i32 s60, s87, s71                                    // 0000000051B4: 923C4757
	v_add_u32_e64 v90, v50, s60                                // 0000000051B8: D134005A 00007932
	v_mov_b32_e32 v91, 0                                       // 0000000051C0: 7EB60280
	s_mul_i32 s60, s88, s71                                    // 0000000051C4: 923C4758
	v_add_u32_e64 v92, v50, s60                                // 0000000051C8: D134005C 00007932
	v_mov_b32_e32 v93, 0                                       // 0000000051D0: 7EBA0280
	s_mul_i32 s60, s89, s71                                    // 0000000051D4: 923C4759
	v_add_u32_e64 v94, v50, s60                                // 0000000051D8: D134005E 00007932
	v_mov_b32_e32 v95, 0                                       // 0000000051E0: 7EBE0280
	buffer_load_dword v12, v5, s[16:19], 0 offen               // 0000000051E4: E0501000 80040C05
	v_mov_b32_e32 v22, 0x358637bd                              // 0000000051EC: 7E2C02FF 358637BD
	v_mov_b32_e32 v23, 0x358637bd                              // 0000000051F4: 7E2E02FF 358637BD
	v_max3_f32 v22, |v128|, |v129|, v22                        // 0000000051FC: D1D30316 045B0380
	v_max3_f32 v22, |v130|, |v131|, v22                        // 000000005204: D1D30316 045B0782
	v_max3_f32 v23, |v132|, |v133|, v23                        // 00000000520C: D1D30317 045F0B84
	v_max3_f32 v23, |v134|, |v135|, v23                        // 000000005214: D1D30317 045F0F86
	v_max3_f32 v22, |v136|, |v137|, v22                        // 00000000521C: D1D30316 045B1388
	v_max3_f32 v22, |v138|, |v139|, v22                        // 000000005224: D1D30316 045B178A
	v_max3_f32 v23, |v140|, |v141|, v23                        // 00000000522C: D1D30317 045F1B8C
	v_max3_f32 v23, |v142|, |v143|, v23                        // 000000005234: D1D30317 045F1F8E
	v_max3_f32 v22, |v144|, |v145|, v22                        // 00000000523C: D1D30316 045B2390
	v_max3_f32 v22, |v146|, |v147|, v22                        // 000000005244: D1D30316 045B2792
	v_max3_f32 v23, |v148|, |v149|, v23                        // 00000000524C: D1D30317 045F2B94
	v_max3_f32 v23, |v150|, |v151|, v23                        // 000000005254: D1D30317 045F2F96
	v_max3_f32 v22, |v152|, |v153|, v22                        // 00000000525C: D1D30316 045B3398
	v_max3_f32 v22, |v154|, |v155|, v22                        // 000000005264: D1D30316 045B379A
	v_max3_f32 v23, |v156|, |v157|, v23                        // 00000000526C: D1D30317 045F3B9C
	v_max3_f32 v23, |v158|, |v159|, v23                        // 000000005274: D1D30317 045F3F9E
	v_max3_f32 v22, |v160|, |v161|, v22                        // 00000000527C: D1D30316 045B43A0
	v_max3_f32 v22, |v162|, |v163|, v22                        // 000000005284: D1D30316 045B47A2
	v_max3_f32 v23, |v164|, |v165|, v23                        // 00000000528C: D1D30317 045F4BA4
	v_max3_f32 v23, |v166|, |v167|, v23                        // 000000005294: D1D30317 045F4FA6
	v_lshlrev_b32_e32 v50, 3, v0                               // 00000000529C: 24640083
	s_mul_i32 s60, 0x200, s7                                   // 0000000052A0: 923C07FF 00000200
	v_add_u32_e32 v50, s60, v50                                // 0000000052A8: 6864643C
	ds_write_b64 v50, v[22:23] offset:16640                    // 0000000052AC: D89A4100 00001632
	s_waitcnt lgkmcnt(0)                                       // 0000000052B4: BF8CC07F
	s_barrier                                                  // 0000000052B8: BF8A0000
	v_and_b32_e32 v50, 15, v0                                  // 0000000052BC: 2664008F
	v_lshlrev_b32_e32 v50, 3, v50                              // 0000000052C0: 24646483
	ds_read_b64 v[96:97], v50 offset:16640                     // 0000000052C4: D8EC4100 60000032
	ds_read_b64 v[98:99], v50 offset:16768                     // 0000000052CC: D8EC4180 62000032
	ds_read_b64 v[100:101], v50 offset:16896                   // 0000000052D4: D8EC4200 64000032
	ds_read_b64 v[102:103], v50 offset:17024                   // 0000000052DC: D8EC4280 66000032
	ds_read_b64 v[104:105], v50 offset:17152                   // 0000000052E4: D8EC4300 68000032
	ds_read_b64 v[106:107], v50 offset:17280                   // 0000000052EC: D8EC4380 6A000032
	ds_read_b64 v[108:109], v50 offset:17408                   // 0000000052F4: D8EC4400 6C000032
	ds_read_b64 v[110:111], v50 offset:17536                   // 0000000052FC: D8EC4480 6E000032
	ds_read_b64 v[112:113], v50 offset:17664                   // 000000005304: D8EC4500 70000032
	ds_read_b64 v[114:115], v50 offset:17792                   // 00000000530C: D8EC4580 72000032
	ds_read_b64 v[116:117], v50 offset:17920                   // 000000005314: D8EC4600 74000032
	ds_read_b64 v[118:119], v50 offset:18048                   // 00000000531C: D8EC4680 76000032
	ds_read_b64 v[120:121], v50 offset:18176                   // 000000005324: D8EC4700 78000032
	ds_read_b64 v[122:123], v50 offset:18304                   // 00000000532C: D8EC4780 7A000032
	ds_read_b64 v[124:125], v50 offset:18432                   // 000000005334: D8EC4800 7C000032
	ds_read_b64 v[126:127], v50 offset:18560                   // 00000000533C: D8EC4880 7E000032
	s_waitcnt lgkmcnt(0)                                       // 000000005344: BF8CC07F
	v_max3_f32 v22, |v96|, |v98|, v22                          // 000000005348: D1D30316 045AC560
	v_max3_f32 v23, |v97|, |v99|, v23                          // 000000005350: D1D30317 045EC761
	v_max3_f32 v22, |v100|, |v102|, v22                        // 000000005358: D1D30316 045ACD64
	v_max3_f32 v23, |v101|, |v103|, v23                        // 000000005360: D1D30317 045ECF65
	v_max3_f32 v22, |v104|, |v106|, v22                        // 000000005368: D1D30316 045AD568
	v_max3_f32 v23, |v105|, |v107|, v23                        // 000000005370: D1D30317 045ED769
	v_max3_f32 v22, |v108|, |v110|, v22                        // 000000005378: D1D30316 045ADD6C
	v_max3_f32 v23, |v109|, |v111|, v23                        // 000000005380: D1D30317 045EDF6D
	v_max3_f32 v22, |v112|, |v114|, v22                        // 000000005388: D1D30316 045AE570
	v_max3_f32 v23, |v113|, |v115|, v23                        // 000000005390: D1D30317 045EE771
	v_max3_f32 v22, |v116|, |v118|, v22                        // 000000005398: D1D30316 045AED74
	v_max3_f32 v23, |v117|, |v119|, v23                        // 0000000053A0: D1D30317 045EEF75
	v_max3_f32 v22, |v120|, |v122|, v22                        // 0000000053A8: D1D30316 045AF578
	v_max3_f32 v23, |v121|, |v123|, v23                        // 0000000053B0: D1D30317 045EF779
	v_max3_f32 v22, |v124|, |v126|, v22                        // 0000000053B8: D1D30316 045AFD7C
	v_max3_f32 v23, |v125|, |v127|, v23                        // 0000000053C0: D1D30317 045EFF7D
	v_rcp_f32_e32 v22, v22                                     // 0000000053C8: 7E2C4516
	v_rcp_f32_e32 v23, v23                                     // 0000000053CC: 7E2E4517
	v_mov_b32_e32 v50, 0x43e00000                              // 0000000053D0: 7E6402FF 43E00000
	v_mul_f32_e32 v22, v50, v22                                // 0000000053D8: 0A2C2D32
	v_mul_f32_e32 v23, v50, v23                                // 0000000053DC: 0A2E2F32
	v_mul_f32_e32 v128, v22, v128                              // 0000000053E0: 0B010116
	v_mul_f32_e32 v129, v22, v129                              // 0000000053E4: 0B030316
	v_mul_f32_e32 v130, v22, v130                              // 0000000053E8: 0B050516
	v_mul_f32_e32 v131, v22, v131                              // 0000000053EC: 0B070716
	v_cvt_pk_fp8_f32 v128, v128, v129                          // 0000000053F0: D2A20080 00030380
	v_cvt_pk_fp8_f32 v128, v130, v131 op_sel:[0,0,1]           // 0000000053F8: D2A24080 00030782
	v_mul_f32_e32 v132, v23, v132                              // 000000005400: 0B090917
	v_mul_f32_e32 v133, v23, v133                              // 000000005404: 0B0B0B17
	v_mul_f32_e32 v134, v23, v134                              // 000000005408: 0B0D0D17
	v_mul_f32_e32 v135, v23, v135                              // 00000000540C: 0B0F0F17
	v_cvt_pk_fp8_f32 v129, v132, v133                          // 000000005410: D2A20081 00030B84
	v_cvt_pk_fp8_f32 v129, v134, v135 op_sel:[0,0,1]           // 000000005418: D2A24081 00030F86
	v_mul_f32_e32 v136, v22, v136                              // 000000005420: 0B111116
	v_mul_f32_e32 v137, v22, v137                              // 000000005424: 0B131316
	v_mul_f32_e32 v138, v22, v138                              // 000000005428: 0B151516
	v_mul_f32_e32 v139, v22, v139                              // 00000000542C: 0B171716
	v_cvt_pk_fp8_f32 v130, v136, v137                          // 000000005430: D2A20082 00031388
	v_cvt_pk_fp8_f32 v130, v138, v139 op_sel:[0,0,1]           // 000000005438: D2A24082 0003178A
	v_mul_f32_e32 v140, v23, v140                              // 000000005440: 0B191917
	v_mul_f32_e32 v141, v23, v141                              // 000000005444: 0B1B1B17
	v_mul_f32_e32 v142, v23, v142                              // 000000005448: 0B1D1D17
	v_mul_f32_e32 v143, v23, v143                              // 00000000544C: 0B1F1F17
	v_cvt_pk_fp8_f32 v131, v140, v141                          // 000000005450: D2A20083 00031B8C
	v_cvt_pk_fp8_f32 v131, v142, v143 op_sel:[0,0,1]           // 000000005458: D2A24083 00031F8E
	v_mul_f32_e32 v144, v22, v144                              // 000000005460: 0B212116
	v_mul_f32_e32 v145, v22, v145                              // 000000005464: 0B232316
	v_mul_f32_e32 v146, v22, v146                              // 000000005468: 0B252516
	v_mul_f32_e32 v147, v22, v147                              // 00000000546C: 0B272716
	v_cvt_pk_fp8_f32 v132, v144, v145                          // 000000005470: D2A20084 00032390
	v_cvt_pk_fp8_f32 v132, v146, v147 op_sel:[0,0,1]           // 000000005478: D2A24084 00032792
	v_mul_f32_e32 v148, v23, v148                              // 000000005480: 0B292917
	v_mul_f32_e32 v149, v23, v149                              // 000000005484: 0B2B2B17
	v_mul_f32_e32 v150, v23, v150                              // 000000005488: 0B2D2D17
	v_mul_f32_e32 v151, v23, v151                              // 00000000548C: 0B2F2F17
	v_cvt_pk_fp8_f32 v133, v148, v149                          // 000000005490: D2A20085 00032B94
	v_cvt_pk_fp8_f32 v133, v150, v151 op_sel:[0,0,1]           // 000000005498: D2A24085 00032F96
	v_mul_f32_e32 v152, v22, v152                              // 0000000054A0: 0B313116
	v_mul_f32_e32 v153, v22, v153                              // 0000000054A4: 0B333316
	v_mul_f32_e32 v154, v22, v154                              // 0000000054A8: 0B353516
	v_mul_f32_e32 v155, v22, v155                              // 0000000054AC: 0B373716
	v_cvt_pk_fp8_f32 v134, v152, v153                          // 0000000054B0: D2A20086 00033398
	v_cvt_pk_fp8_f32 v134, v154, v155 op_sel:[0,0,1]           // 0000000054B8: D2A24086 0003379A
	v_mul_f32_e32 v156, v23, v156                              // 0000000054C0: 0B393917
	v_mul_f32_e32 v157, v23, v157                              // 0000000054C4: 0B3B3B17
	v_mul_f32_e32 v158, v23, v158                              // 0000000054C8: 0B3D3D17
	v_mul_f32_e32 v159, v23, v159                              // 0000000054CC: 0B3F3F17
	v_cvt_pk_fp8_f32 v135, v156, v157                          // 0000000054D0: D2A20087 00033B9C
	v_cvt_pk_fp8_f32 v135, v158, v159 op_sel:[0,0,1]           // 0000000054D8: D2A24087 00033F9E
	v_mul_f32_e32 v160, v22, v160                              // 0000000054E0: 0B414116
	v_mul_f32_e32 v161, v22, v161                              // 0000000054E4: 0B434316
	v_mul_f32_e32 v162, v22, v162                              // 0000000054E8: 0B454516
	v_mul_f32_e32 v163, v22, v163                              // 0000000054EC: 0B474716
	v_cvt_pk_fp8_f32 v136, v160, v161                          // 0000000054F0: D2A20088 000343A0
	v_cvt_pk_fp8_f32 v136, v162, v163 op_sel:[0,0,1]           // 0000000054F8: D2A24088 000347A2
	v_mul_f32_e32 v164, v23, v164                              // 000000005500: 0B494917
	v_mul_f32_e32 v165, v23, v165                              // 000000005504: 0B4B4B17
	v_mul_f32_e32 v166, v23, v166                              // 000000005508: 0B4D4D17
	v_mul_f32_e32 v167, v23, v167                              // 00000000550C: 0B4F4F17
	v_cvt_pk_fp8_f32 v137, v164, v165                          // 000000005510: D2A20089 00034BA4
	v_cvt_pk_fp8_f32 v137, v166, v167 op_sel:[0,0,1]           // 000000005518: D2A24089 00034FA6
	v_rcp_f32_e32 v24, v22                                     // 000000005520: 7E304516
	v_rcp_f32_e32 v25, v23                                     // 000000005524: 7E324517
	v_lshrrev_b32_e32 v50, 5, v0                               // 000000005528: 20640085
	v_lshlrev_b32_e32 v51, 5, v50                              // 00000000552C: 24666485
	v_and_b32_e32 v50, 31, v0                                  // 000000005530: 2664009F
	v_lshrrev_b32_e32 v52, 4, v50                              // 000000005534: 20686484
	v_add_u32_e32 v51, v52, v51                                // 000000005538: 68666734
	v_and_b32_e32 v50, 15, v0                                  // 00000000553C: 2664008F
	v_lshlrev_b32_e32 v50, 1, v50                              // 000000005540: 24646481
	v_add_u32_e32 v51, v50, v51                                // 000000005544: 68666732
	v_lshlrev_b32_e32 v50, 2, v51                              // 000000005548: 24646682
	s_mul_i32 s60, 0x100, s7                                   // 00000000554C: 923C07FF 00000100
	v_add_u32_e64 v50, v50, s60                                // 000000005554: D1340032 00007932
	ds_write_b32 v50, v128 offset:18688                        // 00000000555C: D81A4900 00008032
	ds_write_b32 v50, v129 offset:23808                        // 000000005564: D81A5D00 00008132
	ds_write_b32 v50, v130 offset:19712                        // 00000000556C: D81A4D00 00008232
	ds_write_b32 v50, v131 offset:24832                        // 000000005574: D81A6100 00008332
	ds_write_b32 v50, v132 offset:20736                        // 00000000557C: D81A5100 00008432
	ds_write_b32 v50, v133 offset:25856                        // 000000005584: D81A6500 00008532
	ds_write_b32 v50, v134 offset:21760                        // 00000000558C: D81A5500 00008632
	ds_write_b32 v50, v135 offset:26880                        // 000000005594: D81A6900 00008732
	ds_write_b32 v50, v136 offset:22784                        // 00000000559C: D81A5900 00008832
	ds_write_b32 v50, v137 offset:27904                        // 0000000055A4: D81A6D00 00008932
	s_waitcnt lgkmcnt(0)                                       // 0000000055AC: BF8CC07F
	s_barrier                                                  // 0000000055B0: BF8A0000
	v_lshrrev_b32_e32 v50, 4, v0                               // 0000000055B4: 20640084
	v_lshlrev_b32_e32 v51, 6, v50                              // 0000000055B8: 24666486
	v_and_b32_e32 v50, 15, v0                                  // 0000000055BC: 2664008F
	v_lshlrev_b32_e32 v50, 1, v50                              // 0000000055C0: 24646481
	v_add_u32_e32 v51, v50, v51                                // 0000000055C4: 68666732
	v_lshlrev_b32_e32 v50, 2, v51                              // 0000000055C8: 24646682
	ds_read_b64 v[128:129], v50 offset:18688                   // 0000000055CC: D8EC4900 80000032
	ds_read_b64 v[130:131], v50 offset:18816                   // 0000000055D4: D8EC4980 82000032
	ds_read_b64 v[132:133], v50 offset:19712                   // 0000000055DC: D8EC4D00 84000032
	ds_read_b64 v[134:135], v50 offset:19840                   // 0000000055E4: D8EC4D80 86000032
	ds_read_b64 v[136:137], v50 offset:20736                   // 0000000055EC: D8EC5100 88000032
	ds_read_b64 v[138:139], v50 offset:20864                   // 0000000055F4: D8EC5180 8A000032
	ds_read_b64 v[140:141], v50 offset:21760                   // 0000000055FC: D8EC5500 8C000032
	ds_read_b64 v[142:143], v50 offset:21888                   // 000000005604: D8EC5580 8E000032
	ds_read_b64 v[144:145], v50 offset:22784                   // 00000000560C: D8EC5900 90000032
	ds_read_b64 v[146:147], v50 offset:22912                   // 000000005614: D8EC5980 92000032
	ds_read_b64 v[148:149], v50 offset:23808                   // 00000000561C: D8EC5D00 94000032
	ds_read_b64 v[150:151], v50 offset:23936                   // 000000005624: D8EC5D80 96000032
	ds_read_b64 v[152:153], v50 offset:24832                   // 00000000562C: D8EC6100 98000032
	ds_read_b64 v[154:155], v50 offset:24960                   // 000000005634: D8EC6180 9A000032
	ds_read_b64 v[156:157], v50 offset:25856                   // 00000000563C: D8EC6500 9C000032
	ds_read_b64 v[158:159], v50 offset:25984                   // 000000005644: D8EC6580 9E000032
	ds_read_b64 v[160:161], v50 offset:26880                   // 00000000564C: D8EC6900 A0000032
	ds_read_b64 v[162:163], v50 offset:27008                   // 000000005654: D8EC6980 A2000032
	ds_read_b64 v[164:165], v50 offset:27904                   // 00000000565C: D8EC6D00 A4000032
	ds_read_b64 v[166:167], v50 offset:28032                   // 000000005664: D8EC6D80 A6000032
	s_add_u32 s12, s56, s12                                    // 00000000566C: 800C0C38
	s_addc_u32 s13, 0, s13                                     // 000000005670: 820D0D80
	s_add_u32 s16, s79, s16                                    // 000000005674: 8010104F
	s_addc_u32 s17, 0, s17                                     // 000000005678: 82111180
	s_mov_b32 s80, 0                                           // 00000000567C: BED00080
	s_waitcnt vmcnt(0) expcnt(0) lgkmcnt(0)                    // 000000005680: BF8C0000

0000000000005684 <label_0A21>:
	s_waitcnt vmcnt(33)                                        // 000000005684: BF8C8F71
	s_barrier                                                  // 000000005688: BF8A0000
	v_mfma_f32_16x16x32_fp8_fp8 v[168:171], a[0:1], v[128:129], 0// 00000000568C: D3F300A8 0A030100
	v_mfma_f32_16x16x32_fp8_fp8 v[168:171], a[2:3], v[130:131], v[168:171]// 000000005694: D3F300A8 0EA30502
	buffer_load_dwordx4 a[80:83], v39, s[12:15], 0 offen       // 00000000569C: E05C1000 80835027
	v_mfma_f32_16x16x32_fp8_fp8 v[172:175], a[0:1], v[148:149], 0// 0000000056A4: D3F300AC 0A032900
	v_mfma_f32_16x16x32_fp8_fp8 v[172:175], a[2:3], v[150:151], v[172:175]// 0000000056AC: D3F300AC 0EB32D02
	v_mfma_f32_16x16x32_fp8_fp8 v[176:179], a[4:5], v[128:129], 0// 0000000056B4: D3F300B0 0A030104
	v_mfma_f32_16x16x32_fp8_fp8 v[176:179], a[6:7], v[130:131], v[176:179]// 0000000056BC: D3F300B0 0EC30506
	buffer_load_dwordx4 a[84:87], v40, s[12:15], 0 offen       // 0000000056C4: E05C1000 80835428
	v_mfma_f32_16x16x32_fp8_fp8 v[180:183], a[4:5], v[148:149], 0// 0000000056CC: D3F300B4 0A032904
	v_mfma_f32_16x16x32_fp8_fp8 v[180:183], a[6:7], v[150:151], v[180:183]// 0000000056D4: D3F300B4 0ED32D06
	v_mfma_f32_16x16x32_fp8_fp8 v[184:187], a[8:9], v[128:129], 0// 0000000056DC: D3F300B8 0A030108
	v_mfma_f32_16x16x32_fp8_fp8 v[184:187], a[10:11], v[130:131], v[184:187]// 0000000056E4: D3F300B8 0EE3050A
	buffer_load_dwordx4 a[88:91], v41, s[12:15], 0 offen       // 0000000056EC: E05C1000 80835829
	v_mfma_f32_16x16x32_fp8_fp8 v[188:191], a[8:9], v[148:149], 0// 0000000056F4: D3F300BC 0A032908
	v_mfma_f32_16x16x32_fp8_fp8 v[188:191], a[10:11], v[150:151], v[188:191]// 0000000056FC: D3F300BC 0EF32D0A
	v_mfma_f32_16x16x32_fp8_fp8 v[192:195], a[12:13], v[128:129], 0// 000000005704: D3F300C0 0A03010C
	v_mfma_f32_16x16x32_fp8_fp8 v[192:195], a[14:15], v[130:131], v[192:195]// 00000000570C: D3F300C0 0F03050E
	buffer_load_dwordx4 a[92:95], v42, s[12:15], 0 offen       // 000000005714: E05C1000 80835C2A
	s_add_u32 s12, s78, s12                                    // 00000000571C: 800C0C4E
	s_addc_u32 s13, 0, s13                                     // 000000005720: 820D0D80
	v_mfma_f32_16x16x32_fp8_fp8 v[196:199], a[12:13], v[148:149], 0// 000000005724: D3F300C4 0A03290C
	v_mfma_f32_16x16x32_fp8_fp8 v[196:199], a[14:15], v[150:151], v[196:199]// 00000000572C: D3F300C4 0F132D0E
	s_waitcnt vmcnt(33)                                        // 000000005734: BF8C8F71
	v_mfma_f32_16x16x32_fp8_fp8 v[168:171], a[16:17], v[132:133], v[168:171]// 000000005738: D3F300A8 0EA30910
	v_mfma_f32_16x16x32_fp8_fp8 v[168:171], a[18:19], v[134:135], v[168:171]// 000000005740: D3F300A8 0EA30D12
	buffer_load_dwordx4 a[96:99], v39, s[12:15], 0 offen       // 000000005748: E05C1000 80836027
	v_mfma_f32_16x16x32_fp8_fp8 v[172:175], a[16:17], v[152:153], v[172:175]// 000000005750: D3F300AC 0EB33110
	v_mfma_f32_16x16x32_fp8_fp8 v[172:175], a[18:19], v[154:155], v[172:175]// 000000005758: D3F300AC 0EB33512
	v_mfma_f32_16x16x32_fp8_fp8 v[176:179], a[20:21], v[132:133], v[176:179]// 000000005760: D3F300B0 0EC30914
	v_mfma_f32_16x16x32_fp8_fp8 v[176:179], a[22:23], v[134:135], v[176:179]// 000000005768: D3F300B0 0EC30D16
	buffer_load_dwordx4 a[100:103], v40, s[12:15], 0 offen     // 000000005770: E05C1000 80836428
	v_mfma_f32_16x16x32_fp8_fp8 v[180:183], a[20:21], v[152:153], v[180:183]// 000000005778: D3F300B4 0ED33114
	v_mfma_f32_16x16x32_fp8_fp8 v[180:183], a[22:23], v[154:155], v[180:183]// 000000005780: D3F300B4 0ED33516
	v_mfma_f32_16x16x32_fp8_fp8 v[184:187], a[24:25], v[132:133], v[184:187]// 000000005788: D3F300B8 0EE30918
	v_mfma_f32_16x16x32_fp8_fp8 v[184:187], a[26:27], v[134:135], v[184:187]// 000000005790: D3F300B8 0EE30D1A
	buffer_load_dwordx4 a[104:107], v41, s[12:15], 0 offen     // 000000005798: E05C1000 80836829
	v_mfma_f32_16x16x32_fp8_fp8 v[188:191], a[24:25], v[152:153], v[188:191]// 0000000057A0: D3F300BC 0EF33118
	v_mfma_f32_16x16x32_fp8_fp8 v[188:191], a[26:27], v[154:155], v[188:191]// 0000000057A8: D3F300BC 0EF3351A
	v_mfma_f32_16x16x32_fp8_fp8 v[192:195], a[28:29], v[132:133], v[192:195]// 0000000057B0: D3F300C0 0F03091C
	v_mfma_f32_16x16x32_fp8_fp8 v[192:195], a[30:31], v[134:135], v[192:195]// 0000000057B8: D3F300C0 0F030D1E
	buffer_load_dwordx4 a[108:111], v42, s[12:15], 0 offen     // 0000000057C0: E05C1000 80836C2A
	s_add_u32 s12, s78, s12                                    // 0000000057C8: 800C0C4E
	s_addc_u32 s13, 0, s13                                     // 0000000057CC: 820D0D80
	v_mfma_f32_16x16x32_fp8_fp8 v[196:199], a[28:29], v[152:153], v[196:199]// 0000000057D0: D3F300C4 0F13311C
	v_mfma_f32_16x16x32_fp8_fp8 v[196:199], a[30:31], v[154:155], v[196:199]// 0000000057D8: D3F300C4 0F13351E
	s_waitcnt vmcnt(33)                                        // 0000000057E0: BF8C8F71
	v_mfma_f32_16x16x32_fp8_fp8 v[168:171], a[32:33], v[136:137], v[168:171]// 0000000057E4: D3F300A8 0EA31120
	v_mfma_f32_16x16x32_fp8_fp8 v[168:171], a[34:35], v[138:139], v[168:171]// 0000000057EC: D3F300A8 0EA31522
	buffer_load_dwordx4 a[112:115], v39, s[12:15], 0 offen     // 0000000057F4: E05C1000 80837027
	v_mfma_f32_16x16x32_fp8_fp8 v[172:175], a[32:33], v[156:157], v[172:175]// 0000000057FC: D3F300AC 0EB33920
	v_mfma_f32_16x16x32_fp8_fp8 v[172:175], a[34:35], v[158:159], v[172:175]// 000000005804: D3F300AC 0EB33D22
	v_mfma_f32_16x16x32_fp8_fp8 v[176:179], a[36:37], v[136:137], v[176:179]// 00000000580C: D3F300B0 0EC31124
	v_mfma_f32_16x16x32_fp8_fp8 v[176:179], a[38:39], v[138:139], v[176:179]// 000000005814: D3F300B0 0EC31526
	buffer_load_dwordx4 a[116:119], v40, s[12:15], 0 offen     // 00000000581C: E05C1000 80837428
	v_mfma_f32_16x16x32_fp8_fp8 v[180:183], a[36:37], v[156:157], v[180:183]// 000000005824: D3F300B4 0ED33924
	v_mfma_f32_16x16x32_fp8_fp8 v[180:183], a[38:39], v[158:159], v[180:183]// 00000000582C: D3F300B4 0ED33D26
	v_mfma_f32_16x16x32_fp8_fp8 v[184:187], a[40:41], v[136:137], v[184:187]// 000000005834: D3F300B8 0EE31128
	v_mfma_f32_16x16x32_fp8_fp8 v[184:187], a[42:43], v[138:139], v[184:187]// 00000000583C: D3F300B8 0EE3152A
	buffer_load_dwordx4 a[120:123], v41, s[12:15], 0 offen     // 000000005844: E05C1000 80837829
	v_mfma_f32_16x16x32_fp8_fp8 v[188:191], a[40:41], v[156:157], v[188:191]// 00000000584C: D3F300BC 0EF33928
	v_mfma_f32_16x16x32_fp8_fp8 v[188:191], a[42:43], v[158:159], v[188:191]// 000000005854: D3F300BC 0EF33D2A
	v_mfma_f32_16x16x32_fp8_fp8 v[192:195], a[44:45], v[136:137], v[192:195]// 00000000585C: D3F300C0 0F03112C
	v_mfma_f32_16x16x32_fp8_fp8 v[192:195], a[46:47], v[138:139], v[192:195]// 000000005864: D3F300C0 0F03152E
	buffer_load_dwordx4 a[124:127], v42, s[12:15], 0 offen     // 00000000586C: E05C1000 80837C2A
	s_add_u32 s12, s78, s12                                    // 000000005874: 800C0C4E
	s_addc_u32 s13, 0, s13                                     // 000000005878: 820D0D80
	v_mfma_f32_16x16x32_fp8_fp8 v[196:199], a[44:45], v[156:157], v[196:199]// 00000000587C: D3F300C4 0F13392C
	v_mfma_f32_16x16x32_fp8_fp8 v[196:199], a[46:47], v[158:159], v[196:199]// 000000005884: D3F300C4 0F133D2E
	s_waitcnt vmcnt(33)                                        // 00000000588C: BF8C8F71
	v_mfma_f32_16x16x32_fp8_fp8 v[168:171], a[48:49], v[140:141], v[168:171]// 000000005890: D3F300A8 0EA31930
	v_mfma_f32_16x16x32_fp8_fp8 v[168:171], a[50:51], v[142:143], v[168:171]// 000000005898: D3F300A8 0EA31D32
	buffer_load_dwordx4 a[128:131], v39, s[12:15], 0 offen     // 0000000058A0: E05C1000 80838027
	v_mfma_f32_16x16x32_fp8_fp8 v[172:175], a[48:49], v[160:161], v[172:175]// 0000000058A8: D3F300AC 0EB34130
	v_mfma_f32_16x16x32_fp8_fp8 v[172:175], a[50:51], v[162:163], v[172:175]// 0000000058B0: D3F300AC 0EB34532
	v_mfma_f32_16x16x32_fp8_fp8 v[176:179], a[52:53], v[140:141], v[176:179]// 0000000058B8: D3F300B0 0EC31934
	v_mfma_f32_16x16x32_fp8_fp8 v[176:179], a[54:55], v[142:143], v[176:179]// 0000000058C0: D3F300B0 0EC31D36
	buffer_load_dwordx4 a[132:135], v40, s[12:15], 0 offen     // 0000000058C8: E05C1000 80838428
	v_mfma_f32_16x16x32_fp8_fp8 v[180:183], a[52:53], v[160:161], v[180:183]// 0000000058D0: D3F300B4 0ED34134
	v_mfma_f32_16x16x32_fp8_fp8 v[180:183], a[54:55], v[162:163], v[180:183]// 0000000058D8: D3F300B4 0ED34536
	v_mfma_f32_16x16x32_fp8_fp8 v[184:187], a[56:57], v[140:141], v[184:187]// 0000000058E0: D3F300B8 0EE31938
	v_mfma_f32_16x16x32_fp8_fp8 v[184:187], a[58:59], v[142:143], v[184:187]// 0000000058E8: D3F300B8 0EE31D3A
	buffer_load_dwordx4 a[136:139], v41, s[12:15], 0 offen     // 0000000058F0: E05C1000 80838829
	v_mfma_f32_16x16x32_fp8_fp8 v[188:191], a[56:57], v[160:161], v[188:191]// 0000000058F8: D3F300BC 0EF34138
	v_mfma_f32_16x16x32_fp8_fp8 v[188:191], a[58:59], v[162:163], v[188:191]// 000000005900: D3F300BC 0EF3453A
	v_mfma_f32_16x16x32_fp8_fp8 v[192:195], a[60:61], v[140:141], v[192:195]// 000000005908: D3F300C0 0F03193C
	v_mfma_f32_16x16x32_fp8_fp8 v[192:195], a[62:63], v[142:143], v[192:195]// 000000005910: D3F300C0 0F031D3E
	buffer_load_dwordx4 a[140:143], v42, s[12:15], 0 offen     // 000000005918: E05C1000 80838C2A
	s_add_u32 s12, s78, s12                                    // 000000005920: 800C0C4E
	s_addc_u32 s13, 0, s13                                     // 000000005924: 820D0D80
	v_mfma_f32_16x16x32_fp8_fp8 v[196:199], a[60:61], v[160:161], v[196:199]// 000000005928: D3F300C4 0F13413C
	v_mfma_f32_16x16x32_fp8_fp8 v[196:199], a[62:63], v[162:163], v[196:199]// 000000005930: D3F300C4 0F13453E
	s_waitcnt vmcnt(32)                                        // 000000005938: BF8C8F70
	v_mfma_f32_16x16x32_fp8_fp8 v[168:171], a[64:65], v[144:145], v[168:171]// 00000000593C: D3F300A8 0EA32140
	v_mfma_f32_16x16x32_fp8_fp8 v[168:171], a[66:67], v[146:147], v[168:171]// 000000005944: D3F300A8 0EA32542
	buffer_load_dwordx4 a[144:147], v39, s[12:15], 0 offen     // 00000000594C: E05C1000 80839027
	v_mfma_f32_16x16x32_fp8_fp8 v[172:175], a[64:65], v[164:165], v[172:175]// 000000005954: D3F300AC 0EB34940
	v_mfma_f32_16x16x32_fp8_fp8 v[172:175], a[66:67], v[166:167], v[172:175]// 00000000595C: D3F300AC 0EB34D42
	buffer_load_dword v13, v5, s[16:19], 0 offen               // 000000005964: E0501000 80040D05
	v_mfma_f32_16x16x32_fp8_fp8 v[176:179], a[68:69], v[144:145], v[176:179]// 00000000596C: D3F300B0 0EC32144
	v_mfma_f32_16x16x32_fp8_fp8 v[176:179], a[70:71], v[146:147], v[176:179]// 000000005974: D3F300B0 0EC32546
	buffer_load_dwordx4 a[148:151], v40, s[12:15], 0 offen     // 00000000597C: E05C1000 80839428
	v_mfma_f32_16x16x32_fp8_fp8 v[180:183], a[68:69], v[164:165], v[180:183]// 000000005984: D3F300B4 0ED34944
	v_mfma_f32_16x16x32_fp8_fp8 v[180:183], a[70:71], v[166:167], v[180:183]// 00000000598C: D3F300B4 0ED34D46
	v_mfma_f32_16x16x32_fp8_fp8 v[184:187], a[72:73], v[144:145], v[184:187]// 000000005994: D3F300B8 0EE32148
	v_mfma_f32_16x16x32_fp8_fp8 v[184:187], a[74:75], v[146:147], v[184:187]// 00000000599C: D3F300B8 0EE3254A
	buffer_load_dwordx4 a[152:155], v41, s[12:15], 0 offen     // 0000000059A4: E05C1000 80839829
	v_mfma_f32_16x16x32_fp8_fp8 v[188:191], a[72:73], v[164:165], v[188:191]// 0000000059AC: D3F300BC 0EF34948
	v_mfma_f32_16x16x32_fp8_fp8 v[188:191], a[74:75], v[166:167], v[188:191]// 0000000059B4: D3F300BC 0EF34D4A
	v_mfma_f32_16x16x32_fp8_fp8 v[192:195], a[76:77], v[144:145], v[192:195]// 0000000059BC: D3F300C0 0F03214C
	v_mfma_f32_16x16x32_fp8_fp8 v[192:195], a[78:79], v[146:147], v[192:195]// 0000000059C4: D3F300C0 0F03254E
	buffer_load_dwordx4 a[156:159], v42, s[12:15], 0 offen     // 0000000059CC: E05C1000 80839C2A
	v_mfma_f32_16x16x32_fp8_fp8 v[196:199], a[76:77], v[164:165], v[196:199]// 0000000059D4: D3F300C4 0F13494C
	v_mfma_f32_16x16x32_fp8_fp8 v[196:199], a[78:79], v[166:167], v[196:199]// 0000000059DC: D3F300C4 0F134D4E
	s_add_u32 s60, 0x200, s80                                  // 0000000059E4: 803C50FF 00000200
	s_cmp_lt_u32 s60, s81                                      // 0000000059EC: BF0A513C
	s_cselect_b32 s56, s56, 0                                  // 0000000059F0: 85388038
	s_cselect_b32 s78, s78, 0                                  // 0000000059F4: 854E804E
	s_cselect_b32 s79, s79, 0                                  // 0000000059F8: 854F804F
	s_add_u32 s12, s56, s12                                    // 0000000059FC: 800C0C38
	s_addc_u32 s13, 0, s13                                     // 000000005A00: 820D0D80
	s_add_u32 s16, s79, s16                                    // 000000005A04: 8010104F
	s_addc_u32 s17, 0, s17                                     // 000000005A08: 82111180
	v_mul_f32_e32 v168, v24, v168                              // 000000005A0C: 0B515118
	v_mul_f32_e32 v169, v24, v169                              // 000000005A10: 0B535318
	v_mul_f32_e32 v170, v24, v170                              // 000000005A14: 0B555518
	v_mul_f32_e32 v171, v24, v171                              // 000000005A18: 0B575718
	v_mul_f32_dpp v168, v12, v168 row_newbcast:0 row_mask:0xf bank_mask:0xf// 000000005A1C: 0B5150FA FF01500C
	v_mul_f32_dpp v169, v12, v169 row_newbcast:1 row_mask:0xf bank_mask:0xf// 000000005A24: 0B5352FA FF01510C
	v_mul_f32_dpp v170, v12, v170 row_newbcast:2 row_mask:0xf bank_mask:0xf// 000000005A2C: 0B5554FA FF01520C
	v_mul_f32_dpp v171, v12, v171 row_newbcast:3 row_mask:0xf bank_mask:0xf// 000000005A34: 0B5756FA FF01530C
	v_mul_f32_e32 v168, v20, v168                              // 000000005A3C: 0B515114
	v_mul_f32_e32 v169, v20, v169                              // 000000005A40: 0B535314
	v_mul_f32_e32 v170, v20, v170                              // 000000005A44: 0B555514
	v_mul_f32_e32 v171, v20, v171                              // 000000005A48: 0B575714
	v_mul_f32_e32 v172, v25, v172                              // 000000005A4C: 0B595919
	v_mul_f32_e32 v173, v25, v173                              // 000000005A50: 0B5B5B19
	v_mul_f32_e32 v174, v25, v174                              // 000000005A54: 0B5D5D19
	v_mul_f32_e32 v175, v25, v175                              // 000000005A58: 0B5F5F19
	v_mul_f32_dpp v172, v12, v172 row_newbcast:0 row_mask:0xf bank_mask:0xf// 000000005A5C: 0B5958FA FF01500C
	v_mul_f32_dpp v173, v12, v173 row_newbcast:1 row_mask:0xf bank_mask:0xf// 000000005A64: 0B5B5AFA FF01510C
	v_mul_f32_dpp v174, v12, v174 row_newbcast:2 row_mask:0xf bank_mask:0xf// 000000005A6C: 0B5D5CFA FF01520C
	v_mul_f32_dpp v175, v12, v175 row_newbcast:3 row_mask:0xf bank_mask:0xf// 000000005A74: 0B5F5EFA FF01530C
	v_mul_f32_e32 v172, v21, v172                              // 000000005A7C: 0B595915
	v_mul_f32_e32 v173, v21, v173                              // 000000005A80: 0B5B5B15
	v_mul_f32_e32 v174, v21, v174                              // 000000005A84: 0B5D5D15
	v_mul_f32_e32 v175, v21, v175                              // 000000005A88: 0B5F5F15
	v_mul_f32_e32 v176, v24, v176                              // 000000005A8C: 0B616118
	v_mul_f32_e32 v177, v24, v177                              // 000000005A90: 0B636318
	v_mul_f32_e32 v178, v24, v178                              // 000000005A94: 0B656518
	v_mul_f32_e32 v179, v24, v179                              // 000000005A98: 0B676718
	v_mul_f32_dpp v176, v12, v176 row_newbcast:4 row_mask:0xf bank_mask:0xf// 000000005A9C: 0B6160FA FF01540C
	v_mul_f32_dpp v177, v12, v177 row_newbcast:5 row_mask:0xf bank_mask:0xf// 000000005AA4: 0B6362FA FF01550C
	v_mul_f32_dpp v178, v12, v178 row_newbcast:6 row_mask:0xf bank_mask:0xf// 000000005AAC: 0B6564FA FF01560C
	v_mul_f32_dpp v179, v12, v179 row_newbcast:7 row_mask:0xf bank_mask:0xf// 000000005AB4: 0B6766FA FF01570C
	v_mul_f32_e32 v176, v20, v176                              // 000000005ABC: 0B616114
	v_mul_f32_e32 v177, v20, v177                              // 000000005AC0: 0B636314
	v_mul_f32_e32 v178, v20, v178                              // 000000005AC4: 0B656514
	v_mul_f32_e32 v179, v20, v179                              // 000000005AC8: 0B676714
	v_mul_f32_e32 v180, v25, v180                              // 000000005ACC: 0B696919
	v_mul_f32_e32 v181, v25, v181                              // 000000005AD0: 0B6B6B19
	v_mul_f32_e32 v182, v25, v182                              // 000000005AD4: 0B6D6D19
	v_mul_f32_e32 v183, v25, v183                              // 000000005AD8: 0B6F6F19
	v_mul_f32_dpp v180, v12, v180 row_newbcast:4 row_mask:0xf bank_mask:0xf// 000000005ADC: 0B6968FA FF01540C
	v_mul_f32_dpp v181, v12, v181 row_newbcast:5 row_mask:0xf bank_mask:0xf// 000000005AE4: 0B6B6AFA FF01550C
	v_mul_f32_dpp v182, v12, v182 row_newbcast:6 row_mask:0xf bank_mask:0xf// 000000005AEC: 0B6D6CFA FF01560C
	v_mul_f32_dpp v183, v12, v183 row_newbcast:7 row_mask:0xf bank_mask:0xf// 000000005AF4: 0B6F6EFA FF01570C
	v_mul_f32_e32 v180, v21, v180                              // 000000005AFC: 0B696915
	v_mul_f32_e32 v181, v21, v181                              // 000000005B00: 0B6B6B15
	v_mul_f32_e32 v182, v21, v182                              // 000000005B04: 0B6D6D15
	v_mul_f32_e32 v183, v21, v183                              // 000000005B08: 0B6F6F15
	v_mul_f32_e32 v184, v24, v184                              // 000000005B0C: 0B717118
	v_mul_f32_e32 v185, v24, v185                              // 000000005B10: 0B737318
	v_mul_f32_e32 v186, v24, v186                              // 000000005B14: 0B757518
	v_mul_f32_e32 v187, v24, v187                              // 000000005B18: 0B777718
	v_mul_f32_dpp v184, v12, v184 row_newbcast:8 row_mask:0xf bank_mask:0xf// 000000005B1C: 0B7170FA FF01580C
	v_mul_f32_dpp v185, v12, v185 row_newbcast:9 row_mask:0xf bank_mask:0xf// 000000005B24: 0B7372FA FF01590C
	v_mul_f32_dpp v186, v12, v186 row_newbcast:10 row_mask:0xf bank_mask:0xf// 000000005B2C: 0B7574FA FF015A0C
	v_mul_f32_dpp v187, v12, v187 row_newbcast:11 row_mask:0xf bank_mask:0xf// 000000005B34: 0B7776FA FF015B0C
	v_mul_f32_e32 v184, v20, v184                              // 000000005B3C: 0B717114
	v_mul_f32_e32 v185, v20, v185                              // 000000005B40: 0B737314
	v_mul_f32_e32 v186, v20, v186                              // 000000005B44: 0B757514
	v_mul_f32_e32 v187, v20, v187                              // 000000005B48: 0B777714
	v_mul_f32_e32 v188, v25, v188                              // 000000005B4C: 0B797919
	v_mul_f32_e32 v189, v25, v189                              // 000000005B50: 0B7B7B19
	v_mul_f32_e32 v190, v25, v190                              // 000000005B54: 0B7D7D19
	v_mul_f32_e32 v191, v25, v191                              // 000000005B58: 0B7F7F19
	v_mul_f32_dpp v188, v12, v188 row_newbcast:8 row_mask:0xf bank_mask:0xf// 000000005B5C: 0B7978FA FF01580C
	v_mul_f32_dpp v189, v12, v189 row_newbcast:9 row_mask:0xf bank_mask:0xf// 000000005B64: 0B7B7AFA FF01590C
	v_mul_f32_dpp v190, v12, v190 row_newbcast:10 row_mask:0xf bank_mask:0xf// 000000005B6C: 0B7D7CFA FF015A0C
	v_mul_f32_dpp v191, v12, v191 row_newbcast:11 row_mask:0xf bank_mask:0xf// 000000005B74: 0B7F7EFA FF015B0C
	v_mul_f32_e32 v188, v21, v188                              // 000000005B7C: 0B797915
	v_mul_f32_e32 v189, v21, v189                              // 000000005B80: 0B7B7B15
	v_mul_f32_e32 v190, v21, v190                              // 000000005B84: 0B7D7D15
	v_mul_f32_e32 v191, v21, v191                              // 000000005B88: 0B7F7F15
	v_mul_f32_e32 v192, v24, v192                              // 000000005B8C: 0B818118
	v_mul_f32_e32 v193, v24, v193                              // 000000005B90: 0B838318
	v_mul_f32_e32 v194, v24, v194                              // 000000005B94: 0B858518
	v_mul_f32_e32 v195, v24, v195                              // 000000005B98: 0B878718
	v_mul_f32_dpp v192, v12, v192 row_newbcast:12 row_mask:0xf bank_mask:0xf// 000000005B9C: 0B8180FA FF015C0C
	v_mul_f32_dpp v193, v12, v193 row_newbcast:13 row_mask:0xf bank_mask:0xf// 000000005BA4: 0B8382FA FF015D0C
	v_mul_f32_dpp v194, v12, v194 row_newbcast:14 row_mask:0xf bank_mask:0xf// 000000005BAC: 0B8584FA FF015E0C
	v_mul_f32_dpp v195, v12, v195 row_newbcast:15 row_mask:0xf bank_mask:0xf// 000000005BB4: 0B8786FA FF015F0C
	v_mul_f32_e32 v192, v20, v192                              // 000000005BBC: 0B818114
	v_mul_f32_e32 v193, v20, v193                              // 000000005BC0: 0B838314
	v_mul_f32_e32 v194, v20, v194                              // 000000005BC4: 0B858514
	v_mul_f32_e32 v195, v20, v195                              // 000000005BC8: 0B878714
	v_mul_f32_e32 v196, v25, v196                              // 000000005BCC: 0B898919
	v_mul_f32_e32 v197, v25, v197                              // 000000005BD0: 0B8B8B19
	v_mul_f32_e32 v198, v25, v198                              // 000000005BD4: 0B8D8D19
	v_mul_f32_e32 v199, v25, v199                              // 000000005BD8: 0B8F8F19
	v_mul_f32_dpp v196, v12, v196 row_newbcast:12 row_mask:0xf bank_mask:0xf// 000000005BDC: 0B8988FA FF015C0C
	v_mul_f32_dpp v197, v12, v197 row_newbcast:13 row_mask:0xf bank_mask:0xf// 000000005BE4: 0B8B8AFA FF015D0C
	v_mul_f32_dpp v198, v12, v198 row_newbcast:14 row_mask:0xf bank_mask:0xf// 000000005BEC: 0B8D8CFA FF015E0C
	v_mul_f32_dpp v199, v12, v199 row_newbcast:15 row_mask:0xf bank_mask:0xf// 000000005BF4: 0B8F8EFA FF015F0C
	v_mul_f32_e32 v196, v21, v196                              // 000000005BFC: 0B898915
	v_mul_f32_e32 v197, v21, v197                              // 000000005C00: 0B8B8B15
	v_mul_f32_e32 v198, v21, v198                              // 000000005C04: 0B8D8D15
	v_mul_f32_e32 v199, v21, v199                              // 000000005C08: 0B8F8F15
	v_cvt_pkrtz_f16_f32 v168, v168, v169                       // 000000005C0C: D29600A8 000353A8
	v_cvt_pkrtz_f16_f32 v169, v170, v171                       // 000000005C14: D29600A9 000357AA
	v_cvt_pkrtz_f16_f32 v170, v172, v173                       // 000000005C1C: D29600AA 00035BAC
	v_cvt_pkrtz_f16_f32 v171, v174, v175                       // 000000005C24: D29600AB 00035FAE
	v_cvt_pkrtz_f16_f32 v172, v176, v177                       // 000000005C2C: D29600AC 000363B0
	v_cvt_pkrtz_f16_f32 v173, v178, v179                       // 000000005C34: D29600AD 000367B2
	v_cvt_pkrtz_f16_f32 v174, v180, v181                       // 000000005C3C: D29600AE 00036BB4
	v_cvt_pkrtz_f16_f32 v175, v182, v183                       // 000000005C44: D29600AF 00036FB6
	v_cvt_pkrtz_f16_f32 v176, v184, v185                       // 000000005C4C: D29600B0 000373B8
	v_cvt_pkrtz_f16_f32 v177, v186, v187                       // 000000005C54: D29600B1 000377BA
	v_cvt_pkrtz_f16_f32 v178, v188, v189                       // 000000005C5C: D29600B2 00037BBC
	v_cvt_pkrtz_f16_f32 v179, v190, v191                       // 000000005C64: D29600B3 00037FBE
	v_cvt_pkrtz_f16_f32 v180, v192, v193                       // 000000005C6C: D29600B4 000383C0
	v_cvt_pkrtz_f16_f32 v181, v194, v195                       // 000000005C74: D29600B5 000387C2
	v_cvt_pkrtz_f16_f32 v182, v196, v197                       // 000000005C7C: D29600B6 00038BC4
	v_cvt_pkrtz_f16_f32 v183, v198, v199                       // 000000005C84: D29600B7 00038FC6
	ds_write_b64 v3, v[168:169] offset:28928                   // 000000005C8C: D89A7100 0000A803
	ds_write_b64 v3, v[170:171] offset:37632                   // 000000005C94: D89A9300 0000AA03
	ds_write_b64 v3, v[172:173] offset:31104                   // 000000005C9C: D89A7980 0000AC03
	ds_write_b64 v3, v[174:175] offset:39808                   // 000000005CA4: D89A9B80 0000AE03
	ds_write_b64 v3, v[176:177] offset:33280                   // 000000005CAC: D89A8200 0000B003
	ds_write_b64 v3, v[178:179] offset:41984                   // 000000005CB4: D89AA400 0000B203
	ds_write_b64 v3, v[180:181] offset:35456                   // 000000005CBC: D89A8A80 0000B403
	ds_write_b64 v3, v[182:183] offset:44160                   // 000000005CC4: D89AAC80 0000B603
	s_waitcnt lgkmcnt(0)                                       // 000000005CCC: BF8CC07F
	s_barrier                                                  // 000000005CD0: BF8A0000
	ds_read_b32 v64, v4 offset:28928                           // 000000005CD4: D86C7100 40000004
	ds_read_b32 v65, v4 offset:33280                           // 000000005CDC: D86C8200 41000004
	ds_read_b32 v66, v4 offset:28960                           // 000000005CE4: D86C7120 42000004
	ds_read_b32 v67, v4 offset:33312                           // 000000005CEC: D86C8220 43000004
	ds_read_b32 v68, v4 offset:28992                           // 000000005CF4: D86C7140 44000004
	ds_read_b32 v69, v4 offset:33344                           // 000000005CFC: D86C8240 45000004
	ds_read_b32 v70, v4 offset:29024                           // 000000005D04: D86C7160 46000004
	ds_read_b32 v71, v4 offset:33376                           // 000000005D0C: D86C8260 47000004
	ds_read_b32 v72, v4 offset:37632                           // 000000005D14: D86C9300 48000004
	ds_read_b32 v73, v4 offset:41984                           // 000000005D1C: D86CA400 49000004
	ds_read_b32 v74, v4 offset:37664                           // 000000005D24: D86C9320 4A000004
	ds_read_b32 v75, v4 offset:42016                           // 000000005D2C: D86CA420 4B000004
	ds_read_b32 v76, v4 offset:37696                           // 000000005D34: D86C9340 4C000004
	ds_read_b32 v77, v4 offset:42048                           // 000000005D3C: D86CA440 4D000004
	ds_read_b32 v78, v4 offset:37728                           // 000000005D44: D86C9360 4E000004
	ds_read_b32 v79, v4 offset:42080                           // 000000005D4C: D86CA460 4F000004
	s_waitcnt lgkmcnt(0)                                       // 000000005D54: BF8CC07F
	s_mov_b64 exec, s[20:21]                                   // 000000005D58: BEFE0114
	global_atomic_pk_add_f16 v80, v64, s[8:9]                  // 000000005D5C: DD388000 00084050
	s_mov_b64 exec, s[36:37]                                   // 000000005D64: BEFE0124
	s_mov_b64 exec, s[20:21]                                   // 000000005D68: BEFE0114
	global_atomic_pk_add_f16 v80, v65, s[8:9] offset:256       // 000000005D6C: DD388100 00084150
	s_mov_b64 exec, s[36:37]                                   // 000000005D74: BEFE0124
	s_mov_b64 exec, s[22:23]                                   // 000000005D78: BEFE0116
	global_atomic_pk_add_f16 v82, v66, s[8:9]                  // 000000005D7C: DD388000 00084252
	s_mov_b64 exec, s[36:37]                                   // 000000005D84: BEFE0124
	s_mov_b64 exec, s[22:23]                                   // 000000005D88: BEFE0116
	global_atomic_pk_add_f16 v82, v67, s[8:9] offset:256       // 000000005D8C: DD388100 00084352
	s_mov_b64 exec, s[36:37]                                   // 000000005D94: BEFE0124
	s_mov_b64 exec, s[24:25]                                   // 000000005D98: BEFE0118
	global_atomic_pk_add_f16 v84, v68, s[8:9]                  // 000000005D9C: DD388000 00084454
	s_mov_b64 exec, s[36:37]                                   // 000000005DA4: BEFE0124
	s_mov_b64 exec, s[24:25]                                   // 000000005DA8: BEFE0118
	global_atomic_pk_add_f16 v84, v69, s[8:9] offset:256       // 000000005DAC: DD388100 00084554
	s_mov_b64 exec, s[36:37]                                   // 000000005DB4: BEFE0124
	s_mov_b64 exec, s[26:27]                                   // 000000005DB8: BEFE011A
	global_atomic_pk_add_f16 v86, v70, s[8:9]                  // 000000005DBC: DD388000 00084656
	s_mov_b64 exec, s[36:37]                                   // 000000005DC4: BEFE0124
	s_mov_b64 exec, s[26:27]                                   // 000000005DC8: BEFE011A
	global_atomic_pk_add_f16 v86, v71, s[8:9] offset:256       // 000000005DCC: DD388100 00084756
	s_mov_b64 exec, s[36:37]                                   // 000000005DD4: BEFE0124
	s_mov_b64 exec, s[28:29]                                   // 000000005DD8: BEFE011C
	global_atomic_pk_add_f16 v88, v72, s[8:9]                  // 000000005DDC: DD388000 00084858
	s_mov_b64 exec, s[36:37]                                   // 000000005DE4: BEFE0124
	s_mov_b64 exec, s[28:29]                                   // 000000005DE8: BEFE011C
	global_atomic_pk_add_f16 v88, v73, s[8:9] offset:256       // 000000005DEC: DD388100 00084958
	s_mov_b64 exec, s[36:37]                                   // 000000005DF4: BEFE0124
	s_mov_b64 exec, s[30:31]                                   // 000000005DF8: BEFE011E
	global_atomic_pk_add_f16 v90, v74, s[8:9]                  // 000000005DFC: DD388000 00084A5A
	s_mov_b64 exec, s[36:37]                                   // 000000005E04: BEFE0124
	s_mov_b64 exec, s[30:31]                                   // 000000005E08: BEFE011E
	global_atomic_pk_add_f16 v90, v75, s[8:9] offset:256       // 000000005E0C: DD388100 00084B5A
	s_mov_b64 exec, s[36:37]                                   // 000000005E14: BEFE0124
	s_mov_b64 exec, s[32:33]                                   // 000000005E18: BEFE0120
	global_atomic_pk_add_f16 v92, v76, s[8:9]                  // 000000005E1C: DD388000 00084C5C
	s_mov_b64 exec, s[36:37]                                   // 000000005E24: BEFE0124
	s_mov_b64 exec, s[32:33]                                   // 000000005E28: BEFE0120
	global_atomic_pk_add_f16 v92, v77, s[8:9] offset:256       // 000000005E2C: DD388100 00084D5C
	s_mov_b64 exec, s[36:37]                                   // 000000005E34: BEFE0124
	s_mov_b64 exec, s[34:35]                                   // 000000005E38: BEFE0122
	global_atomic_pk_add_f16 v94, v78, s[8:9]                  // 000000005E3C: DD388000 00084E5E
	s_mov_b64 exec, s[36:37]                                   // 000000005E44: BEFE0124
	s_mov_b64 exec, s[34:35]                                   // 000000005E48: BEFE0122
	global_atomic_pk_add_f16 v94, v79, s[8:9] offset:256       // 000000005E4C: DD388100 00084F5E
	s_mov_b64 exec, s[36:37]                                   // 000000005E54: BEFE0124
	s_add_u32 s8, s59, s8                                      // 000000005E58: 8008083B
	s_addc_u32 s9, 0, s9                                       // 000000005E5C: 82090980
	s_addk_i32 s80, 0x100                                      // 000000005E60: B7500100
	s_cmp_lt_i32 s80, s81                                      // 000000005E64: BF045150
	s_cbranch_scc0 label_0E16                                  // 000000005E68: BF8401FB
	s_waitcnt vmcnt(33)                                        // 000000005E6C: BF8C8F71
	s_barrier                                                  // 000000005E70: BF8A0000
	v_mfma_f32_16x16x32_fp8_fp8 v[200:203], a[80:81], v[128:129], 0// 000000005E74: D3F300C8 0A030150
	v_mfma_f32_16x16x32_fp8_fp8 v[200:203], a[82:83], v[130:131], v[200:203]// 000000005E7C: D3F300C8 0F230552
	buffer_load_dwordx4 a[0:3], v39, s[12:15], 0 offen         // 000000005E84: E05C1000 80830027
	v_mfma_f32_16x16x32_fp8_fp8 v[204:207], a[80:81], v[148:149], 0// 000000005E8C: D3F300CC 0A032950
	v_mfma_f32_16x16x32_fp8_fp8 v[204:207], a[82:83], v[150:151], v[204:207]// 000000005E94: D3F300CC 0F332D52
	v_mfma_f32_16x16x32_fp8_fp8 v[208:211], a[84:85], v[128:129], 0// 000000005E9C: D3F300D0 0A030154
	v_mfma_f32_16x16x32_fp8_fp8 v[208:211], a[86:87], v[130:131], v[208:211]// 000000005EA4: D3F300D0 0F430556
	buffer_load_dwordx4 a[4:7], v40, s[12:15], 0 offen         // 000000005EAC: E05C1000 80830428
	v_mfma_f32_16x16x32_fp8_fp8 v[212:215], a[84:85], v[148:149], 0// 000000005EB4: D3F300D4 0A032954
	v_mfma_f32_16x16x32_fp8_fp8 v[212:215], a[86:87], v[150:151], v[212:215]// 000000005EBC: D3F300D4 0F532D56
	v_mfma_f32_16x16x32_fp8_fp8 v[216:219], a[88:89], v[128:129], 0// 000000005EC4: D3F300D8 0A030158
	v_mfma_f32_16x16x32_fp8_fp8 v[216:219], a[90:91], v[130:131], v[216:219]// 000000005ECC: D3F300D8 0F63055A
	buffer_load_dwordx4 a[8:11], v41, s[12:15], 0 offen        // 000000005ED4: E05C1000 80830829
	v_mfma_f32_16x16x32_fp8_fp8 v[220:223], a[88:89], v[148:149], 0// 000000005EDC: D3F300DC 0A032958
	v_mfma_f32_16x16x32_fp8_fp8 v[220:223], a[90:91], v[150:151], v[220:223]// 000000005EE4: D3F300DC 0F732D5A
	v_mfma_f32_16x16x32_fp8_fp8 v[224:227], a[92:93], v[128:129], 0// 000000005EEC: D3F300E0 0A03015C
	v_mfma_f32_16x16x32_fp8_fp8 v[224:227], a[94:95], v[130:131], v[224:227]// 000000005EF4: D3F300E0 0F83055E
	buffer_load_dwordx4 a[12:15], v42, s[12:15], 0 offen       // 000000005EFC: E05C1000 80830C2A
	s_add_u32 s12, s78, s12                                    // 000000005F04: 800C0C4E
	s_addc_u32 s13, 0, s13                                     // 000000005F08: 820D0D80
	v_mfma_f32_16x16x32_fp8_fp8 v[228:231], a[92:93], v[148:149], 0// 000000005F0C: D3F300E4 0A03295C
	v_mfma_f32_16x16x32_fp8_fp8 v[228:231], a[94:95], v[150:151], v[228:231]// 000000005F14: D3F300E4 0F932D5E
	s_waitcnt vmcnt(33)                                        // 000000005F1C: BF8C8F71
	v_mfma_f32_16x16x32_fp8_fp8 v[200:203], a[96:97], v[132:133], v[200:203]// 000000005F20: D3F300C8 0F230960
	v_mfma_f32_16x16x32_fp8_fp8 v[200:203], a[98:99], v[134:135], v[200:203]// 000000005F28: D3F300C8 0F230D62
	buffer_load_dwordx4 a[16:19], v39, s[12:15], 0 offen       // 000000005F30: E05C1000 80831027
	v_mfma_f32_16x16x32_fp8_fp8 v[204:207], a[96:97], v[152:153], v[204:207]// 000000005F38: D3F300CC 0F333160
	v_mfma_f32_16x16x32_fp8_fp8 v[204:207], a[98:99], v[154:155], v[204:207]// 000000005F40: D3F300CC 0F333562
	v_mfma_f32_16x16x32_fp8_fp8 v[208:211], a[100:101], v[132:133], v[208:211]// 000000005F48: D3F300D0 0F430964
	v_mfma_f32_16x16x32_fp8_fp8 v[208:211], a[102:103], v[134:135], v[208:211]// 000000005F50: D3F300D0 0F430D66
	buffer_load_dwordx4 a[20:23], v40, s[12:15], 0 offen       // 000000005F58: E05C1000 80831428
	v_mfma_f32_16x16x32_fp8_fp8 v[212:215], a[100:101], v[152:153], v[212:215]// 000000005F60: D3F300D4 0F533164
	v_mfma_f32_16x16x32_fp8_fp8 v[212:215], a[102:103], v[154:155], v[212:215]// 000000005F68: D3F300D4 0F533566
	v_mfma_f32_16x16x32_fp8_fp8 v[216:219], a[104:105], v[132:133], v[216:219]// 000000005F70: D3F300D8 0F630968
	v_mfma_f32_16x16x32_fp8_fp8 v[216:219], a[106:107], v[134:135], v[216:219]// 000000005F78: D3F300D8 0F630D6A
	buffer_load_dwordx4 a[24:27], v41, s[12:15], 0 offen       // 000000005F80: E05C1000 80831829
	v_mfma_f32_16x16x32_fp8_fp8 v[220:223], a[104:105], v[152:153], v[220:223]// 000000005F88: D3F300DC 0F733168
	v_mfma_f32_16x16x32_fp8_fp8 v[220:223], a[106:107], v[154:155], v[220:223]// 000000005F90: D3F300DC 0F73356A
	v_mfma_f32_16x16x32_fp8_fp8 v[224:227], a[108:109], v[132:133], v[224:227]// 000000005F98: D3F300E0 0F83096C
	v_mfma_f32_16x16x32_fp8_fp8 v[224:227], a[110:111], v[134:135], v[224:227]// 000000005FA0: D3F300E0 0F830D6E
	buffer_load_dwordx4 a[28:31], v42, s[12:15], 0 offen       // 000000005FA8: E05C1000 80831C2A
	s_add_u32 s12, s78, s12                                    // 000000005FB0: 800C0C4E
	s_addc_u32 s13, 0, s13                                     // 000000005FB4: 820D0D80
	v_mfma_f32_16x16x32_fp8_fp8 v[228:231], a[108:109], v[152:153], v[228:231]// 000000005FB8: D3F300E4 0F93316C
	v_mfma_f32_16x16x32_fp8_fp8 v[228:231], a[110:111], v[154:155], v[228:231]// 000000005FC0: D3F300E4 0F93356E
	s_waitcnt vmcnt(33)                                        // 000000005FC8: BF8C8F71
	v_mfma_f32_16x16x32_fp8_fp8 v[200:203], a[112:113], v[136:137], v[200:203]// 000000005FCC: D3F300C8 0F231170
	v_mfma_f32_16x16x32_fp8_fp8 v[200:203], a[114:115], v[138:139], v[200:203]// 000000005FD4: D3F300C8 0F231572
	buffer_load_dwordx4 a[32:35], v39, s[12:15], 0 offen       // 000000005FDC: E05C1000 80832027
	v_mfma_f32_16x16x32_fp8_fp8 v[204:207], a[112:113], v[156:157], v[204:207]// 000000005FE4: D3F300CC 0F333970
	v_mfma_f32_16x16x32_fp8_fp8 v[204:207], a[114:115], v[158:159], v[204:207]// 000000005FEC: D3F300CC 0F333D72
	v_mfma_f32_16x16x32_fp8_fp8 v[208:211], a[116:117], v[136:137], v[208:211]// 000000005FF4: D3F300D0 0F431174
	v_mfma_f32_16x16x32_fp8_fp8 v[208:211], a[118:119], v[138:139], v[208:211]// 000000005FFC: D3F300D0 0F431576
	buffer_load_dwordx4 a[36:39], v40, s[12:15], 0 offen       // 000000006004: E05C1000 80832428
	v_mfma_f32_16x16x32_fp8_fp8 v[212:215], a[116:117], v[156:157], v[212:215]// 00000000600C: D3F300D4 0F533974
	v_mfma_f32_16x16x32_fp8_fp8 v[212:215], a[118:119], v[158:159], v[212:215]// 000000006014: D3F300D4 0F533D76
	v_mfma_f32_16x16x32_fp8_fp8 v[216:219], a[120:121], v[136:137], v[216:219]// 00000000601C: D3F300D8 0F631178
	v_mfma_f32_16x16x32_fp8_fp8 v[216:219], a[122:123], v[138:139], v[216:219]// 000000006024: D3F300D8 0F63157A
	buffer_load_dwordx4 a[40:43], v41, s[12:15], 0 offen       // 00000000602C: E05C1000 80832829
	v_mfma_f32_16x16x32_fp8_fp8 v[220:223], a[120:121], v[156:157], v[220:223]// 000000006034: D3F300DC 0F733978
	v_mfma_f32_16x16x32_fp8_fp8 v[220:223], a[122:123], v[158:159], v[220:223]// 00000000603C: D3F300DC 0F733D7A
	v_mfma_f32_16x16x32_fp8_fp8 v[224:227], a[124:125], v[136:137], v[224:227]// 000000006044: D3F300E0 0F83117C
	v_mfma_f32_16x16x32_fp8_fp8 v[224:227], a[126:127], v[138:139], v[224:227]// 00000000604C: D3F300E0 0F83157E
	buffer_load_dwordx4 a[44:47], v42, s[12:15], 0 offen       // 000000006054: E05C1000 80832C2A
	s_add_u32 s12, s78, s12                                    // 00000000605C: 800C0C4E
	s_addc_u32 s13, 0, s13                                     // 000000006060: 820D0D80
	v_mfma_f32_16x16x32_fp8_fp8 v[228:231], a[124:125], v[156:157], v[228:231]// 000000006064: D3F300E4 0F93397C
	v_mfma_f32_16x16x32_fp8_fp8 v[228:231], a[126:127], v[158:159], v[228:231]// 00000000606C: D3F300E4 0F933D7E
	s_waitcnt vmcnt(33)                                        // 000000006074: BF8C8F71
	v_mfma_f32_16x16x32_fp8_fp8 v[200:203], a[128:129], v[140:141], v[200:203]// 000000006078: D3F300C8 0F231980
	v_mfma_f32_16x16x32_fp8_fp8 v[200:203], a[130:131], v[142:143], v[200:203]// 000000006080: D3F300C8 0F231D82
	buffer_load_dwordx4 a[48:51], v39, s[12:15], 0 offen       // 000000006088: E05C1000 80833027
	v_mfma_f32_16x16x32_fp8_fp8 v[204:207], a[128:129], v[160:161], v[204:207]// 000000006090: D3F300CC 0F334180
	v_mfma_f32_16x16x32_fp8_fp8 v[204:207], a[130:131], v[162:163], v[204:207]// 000000006098: D3F300CC 0F334582
	v_mfma_f32_16x16x32_fp8_fp8 v[208:211], a[132:133], v[140:141], v[208:211]// 0000000060A0: D3F300D0 0F431984
	v_mfma_f32_16x16x32_fp8_fp8 v[208:211], a[134:135], v[142:143], v[208:211]// 0000000060A8: D3F300D0 0F431D86
	buffer_load_dwordx4 a[52:55], v40, s[12:15], 0 offen       // 0000000060B0: E05C1000 80833428
	v_mfma_f32_16x16x32_fp8_fp8 v[212:215], a[132:133], v[160:161], v[212:215]// 0000000060B8: D3F300D4 0F534184
	v_mfma_f32_16x16x32_fp8_fp8 v[212:215], a[134:135], v[162:163], v[212:215]// 0000000060C0: D3F300D4 0F534586
	v_mfma_f32_16x16x32_fp8_fp8 v[216:219], a[136:137], v[140:141], v[216:219]// 0000000060C8: D3F300D8 0F631988
	v_mfma_f32_16x16x32_fp8_fp8 v[216:219], a[138:139], v[142:143], v[216:219]// 0000000060D0: D3F300D8 0F631D8A
	buffer_load_dwordx4 a[56:59], v41, s[12:15], 0 offen       // 0000000060D8: E05C1000 80833829
	v_mfma_f32_16x16x32_fp8_fp8 v[220:223], a[136:137], v[160:161], v[220:223]// 0000000060E0: D3F300DC 0F734188
	v_mfma_f32_16x16x32_fp8_fp8 v[220:223], a[138:139], v[162:163], v[220:223]// 0000000060E8: D3F300DC 0F73458A
	v_mfma_f32_16x16x32_fp8_fp8 v[224:227], a[140:141], v[140:141], v[224:227]// 0000000060F0: D3F300E0 0F83198C
	v_mfma_f32_16x16x32_fp8_fp8 v[224:227], a[142:143], v[142:143], v[224:227]// 0000000060F8: D3F300E0 0F831D8E
	buffer_load_dwordx4 a[60:63], v42, s[12:15], 0 offen       // 000000006100: E05C1000 80833C2A
	s_add_u32 s12, s78, s12                                    // 000000006108: 800C0C4E
	s_addc_u32 s13, 0, s13                                     // 00000000610C: 820D0D80
	v_mfma_f32_16x16x32_fp8_fp8 v[228:231], a[140:141], v[160:161], v[228:231]// 000000006110: D3F300E4 0F93418C
	v_mfma_f32_16x16x32_fp8_fp8 v[228:231], a[142:143], v[162:163], v[228:231]// 000000006118: D3F300E4 0F93458E
	s_waitcnt vmcnt(32)                                        // 000000006120: BF8C8F70
	v_mfma_f32_16x16x32_fp8_fp8 v[200:203], a[144:145], v[144:145], v[200:203]// 000000006124: D3F300C8 0F232190
	v_mfma_f32_16x16x32_fp8_fp8 v[200:203], a[146:147], v[146:147], v[200:203]// 00000000612C: D3F300C8 0F232592
	buffer_load_dwordx4 a[64:67], v39, s[12:15], 0 offen       // 000000006134: E05C1000 80834027
	v_mfma_f32_16x16x32_fp8_fp8 v[204:207], a[144:145], v[164:165], v[204:207]// 00000000613C: D3F300CC 0F334990
	v_mfma_f32_16x16x32_fp8_fp8 v[204:207], a[146:147], v[166:167], v[204:207]// 000000006144: D3F300CC 0F334D92
	buffer_load_dword v12, v5, s[16:19], 0 offen               // 00000000614C: E0501000 80040C05
	v_mfma_f32_16x16x32_fp8_fp8 v[208:211], a[148:149], v[144:145], v[208:211]// 000000006154: D3F300D0 0F432194
	v_mfma_f32_16x16x32_fp8_fp8 v[208:211], a[150:151], v[146:147], v[208:211]// 00000000615C: D3F300D0 0F432596
	buffer_load_dwordx4 a[68:71], v40, s[12:15], 0 offen       // 000000006164: E05C1000 80834428
	v_mfma_f32_16x16x32_fp8_fp8 v[212:215], a[148:149], v[164:165], v[212:215]// 00000000616C: D3F300D4 0F534994
	v_mfma_f32_16x16x32_fp8_fp8 v[212:215], a[150:151], v[166:167], v[212:215]// 000000006174: D3F300D4 0F534D96
	v_mfma_f32_16x16x32_fp8_fp8 v[216:219], a[152:153], v[144:145], v[216:219]// 00000000617C: D3F300D8 0F632198
	v_mfma_f32_16x16x32_fp8_fp8 v[216:219], a[154:155], v[146:147], v[216:219]// 000000006184: D3F300D8 0F63259A
	buffer_load_dwordx4 a[72:75], v41, s[12:15], 0 offen       // 00000000618C: E05C1000 80834829
	v_mfma_f32_16x16x32_fp8_fp8 v[220:223], a[152:153], v[164:165], v[220:223]// 000000006194: D3F300DC 0F734998
	v_mfma_f32_16x16x32_fp8_fp8 v[220:223], a[154:155], v[166:167], v[220:223]// 00000000619C: D3F300DC 0F734D9A
	v_mfma_f32_16x16x32_fp8_fp8 v[224:227], a[156:157], v[144:145], v[224:227]// 0000000061A4: D3F300E0 0F83219C
	v_mfma_f32_16x16x32_fp8_fp8 v[224:227], a[158:159], v[146:147], v[224:227]// 0000000061AC: D3F300E0 0F83259E
	buffer_load_dwordx4 a[76:79], v42, s[12:15], 0 offen       // 0000000061B4: E05C1000 80834C2A
	v_mfma_f32_16x16x32_fp8_fp8 v[228:231], a[156:157], v[164:165], v[228:231]// 0000000061BC: D3F300E4 0F93499C
	v_mfma_f32_16x16x32_fp8_fp8 v[228:231], a[158:159], v[166:167], v[228:231]// 0000000061C4: D3F300E4 0F934D9E
	s_add_u32 s60, 0x200, s80                                  // 0000000061CC: 803C50FF 00000200
	s_cmp_lt_u32 s60, s81                                      // 0000000061D4: BF0A513C
	s_cselect_b32 s56, s56, 0                                  // 0000000061D8: 85388038
	s_cselect_b32 s78, s78, 0                                  // 0000000061DC: 854E804E
	s_cselect_b32 s79, s79, 0                                  // 0000000061E0: 854F804F
	s_add_u32 s12, s56, s12                                    // 0000000061E4: 800C0C38
	s_addc_u32 s13, 0, s13                                     // 0000000061E8: 820D0D80
	s_add_u32 s16, s79, s16                                    // 0000000061EC: 8010104F
	s_addc_u32 s17, 0, s17                                     // 0000000061F0: 82111180
	v_mul_f32_e32 v200, v24, v200                              // 0000000061F4: 0B919118
	v_mul_f32_e32 v201, v24, v201                              // 0000000061F8: 0B939318
	v_mul_f32_e32 v202, v24, v202                              // 0000000061FC: 0B959518
	v_mul_f32_e32 v203, v24, v203                              // 000000006200: 0B979718
	v_mul_f32_dpp v200, v13, v200 row_newbcast:0 row_mask:0xf bank_mask:0xf// 000000006204: 0B9190FA FF01500D
	v_mul_f32_dpp v201, v13, v201 row_newbcast:1 row_mask:0xf bank_mask:0xf// 00000000620C: 0B9392FA FF01510D
	v_mul_f32_dpp v202, v13, v202 row_newbcast:2 row_mask:0xf bank_mask:0xf// 000000006214: 0B9594FA FF01520D
	v_mul_f32_dpp v203, v13, v203 row_newbcast:3 row_mask:0xf bank_mask:0xf// 00000000621C: 0B9796FA FF01530D
	v_mul_f32_e32 v200, v20, v200                              // 000000006224: 0B919114
	v_mul_f32_e32 v201, v20, v201                              // 000000006228: 0B939314
	v_mul_f32_e32 v202, v20, v202                              // 00000000622C: 0B959514
	v_mul_f32_e32 v203, v20, v203                              // 000000006230: 0B979714
	v_mul_f32_e32 v204, v25, v204                              // 000000006234: 0B999919
	v_mul_f32_e32 v205, v25, v205                              // 000000006238: 0B9B9B19
	v_mul_f32_e32 v206, v25, v206                              // 00000000623C: 0B9D9D19
	v_mul_f32_e32 v207, v25, v207                              // 000000006240: 0B9F9F19
	v_mul_f32_dpp v204, v13, v204 row_newbcast:0 row_mask:0xf bank_mask:0xf// 000000006244: 0B9998FA FF01500D
	v_mul_f32_dpp v205, v13, v205 row_newbcast:1 row_mask:0xf bank_mask:0xf// 00000000624C: 0B9B9AFA FF01510D
	v_mul_f32_dpp v206, v13, v206 row_newbcast:2 row_mask:0xf bank_mask:0xf// 000000006254: 0B9D9CFA FF01520D
	v_mul_f32_dpp v207, v13, v207 row_newbcast:3 row_mask:0xf bank_mask:0xf// 00000000625C: 0B9F9EFA FF01530D
	v_mul_f32_e32 v204, v21, v204                              // 000000006264: 0B999915
	v_mul_f32_e32 v205, v21, v205                              // 000000006268: 0B9B9B15
	v_mul_f32_e32 v206, v21, v206                              // 00000000626C: 0B9D9D15
	v_mul_f32_e32 v207, v21, v207                              // 000000006270: 0B9F9F15
	v_mul_f32_e32 v208, v24, v208                              // 000000006274: 0BA1A118
	v_mul_f32_e32 v209, v24, v209                              // 000000006278: 0BA3A318
	v_mul_f32_e32 v210, v24, v210                              // 00000000627C: 0BA5A518
	v_mul_f32_e32 v211, v24, v211                              // 000000006280: 0BA7A718
	v_mul_f32_dpp v208, v13, v208 row_newbcast:4 row_mask:0xf bank_mask:0xf// 000000006284: 0BA1A0FA FF01540D
	v_mul_f32_dpp v209, v13, v209 row_newbcast:5 row_mask:0xf bank_mask:0xf// 00000000628C: 0BA3A2FA FF01550D
	v_mul_f32_dpp v210, v13, v210 row_newbcast:6 row_mask:0xf bank_mask:0xf// 000000006294: 0BA5A4FA FF01560D
	v_mul_f32_dpp v211, v13, v211 row_newbcast:7 row_mask:0xf bank_mask:0xf// 00000000629C: 0BA7A6FA FF01570D
	v_mul_f32_e32 v208, v20, v208                              // 0000000062A4: 0BA1A114
	v_mul_f32_e32 v209, v20, v209                              // 0000000062A8: 0BA3A314
	v_mul_f32_e32 v210, v20, v210                              // 0000000062AC: 0BA5A514
	v_mul_f32_e32 v211, v20, v211                              // 0000000062B0: 0BA7A714
	v_mul_f32_e32 v212, v25, v212                              // 0000000062B4: 0BA9A919
	v_mul_f32_e32 v213, v25, v213                              // 0000000062B8: 0BABAB19
	v_mul_f32_e32 v214, v25, v214                              // 0000000062BC: 0BADAD19
	v_mul_f32_e32 v215, v25, v215                              // 0000000062C0: 0BAFAF19
	v_mul_f32_dpp v212, v13, v212 row_newbcast:4 row_mask:0xf bank_mask:0xf// 0000000062C4: 0BA9A8FA FF01540D
	v_mul_f32_dpp v213, v13, v213 row_newbcast:5 row_mask:0xf bank_mask:0xf// 0000000062CC: 0BABAAFA FF01550D
	v_mul_f32_dpp v214, v13, v214 row_newbcast:6 row_mask:0xf bank_mask:0xf// 0000000062D4: 0BADACFA FF01560D
	v_mul_f32_dpp v215, v13, v215 row_newbcast:7 row_mask:0xf bank_mask:0xf// 0000000062DC: 0BAFAEFA FF01570D
	v_mul_f32_e32 v212, v21, v212                              // 0000000062E4: 0BA9A915
	v_mul_f32_e32 v213, v21, v213                              // 0000000062E8: 0BABAB15
	v_mul_f32_e32 v214, v21, v214                              // 0000000062EC: 0BADAD15
	v_mul_f32_e32 v215, v21, v215                              // 0000000062F0: 0BAFAF15
	v_mul_f32_e32 v216, v24, v216                              // 0000000062F4: 0BB1B118
	v_mul_f32_e32 v217, v24, v217                              // 0000000062F8: 0BB3B318
	v_mul_f32_e32 v218, v24, v218                              // 0000000062FC: 0BB5B518
	v_mul_f32_e32 v219, v24, v219                              // 000000006300: 0BB7B718
	v_mul_f32_dpp v216, v13, v216 row_newbcast:8 row_mask:0xf bank_mask:0xf// 000000006304: 0BB1B0FA FF01580D
	v_mul_f32_dpp v217, v13, v217 row_newbcast:9 row_mask:0xf bank_mask:0xf// 00000000630C: 0BB3B2FA FF01590D
	v_mul_f32_dpp v218, v13, v218 row_newbcast:10 row_mask:0xf bank_mask:0xf// 000000006314: 0BB5B4FA FF015A0D
	v_mul_f32_dpp v219, v13, v219 row_newbcast:11 row_mask:0xf bank_mask:0xf// 00000000631C: 0BB7B6FA FF015B0D
	v_mul_f32_e32 v216, v20, v216                              // 000000006324: 0BB1B114
	v_mul_f32_e32 v217, v20, v217                              // 000000006328: 0BB3B314
	v_mul_f32_e32 v218, v20, v218                              // 00000000632C: 0BB5B514
	v_mul_f32_e32 v219, v20, v219                              // 000000006330: 0BB7B714
	v_mul_f32_e32 v220, v25, v220                              // 000000006334: 0BB9B919
	v_mul_f32_e32 v221, v25, v221                              // 000000006338: 0BBBBB19
	v_mul_f32_e32 v222, v25, v222                              // 00000000633C: 0BBDBD19
	v_mul_f32_e32 v223, v25, v223                              // 000000006340: 0BBFBF19
	v_mul_f32_dpp v220, v13, v220 row_newbcast:8 row_mask:0xf bank_mask:0xf// 000000006344: 0BB9B8FA FF01580D
	v_mul_f32_dpp v221, v13, v221 row_newbcast:9 row_mask:0xf bank_mask:0xf// 00000000634C: 0BBBBAFA FF01590D
	v_mul_f32_dpp v222, v13, v222 row_newbcast:10 row_mask:0xf bank_mask:0xf// 000000006354: 0BBDBCFA FF015A0D
	v_mul_f32_dpp v223, v13, v223 row_newbcast:11 row_mask:0xf bank_mask:0xf// 00000000635C: 0BBFBEFA FF015B0D
	v_mul_f32_e32 v220, v21, v220                              // 000000006364: 0BB9B915
	v_mul_f32_e32 v221, v21, v221                              // 000000006368: 0BBBBB15
	v_mul_f32_e32 v222, v21, v222                              // 00000000636C: 0BBDBD15
	v_mul_f32_e32 v223, v21, v223                              // 000000006370: 0BBFBF15
	v_mul_f32_e32 v224, v24, v224                              // 000000006374: 0BC1C118
	v_mul_f32_e32 v225, v24, v225                              // 000000006378: 0BC3C318
	v_mul_f32_e32 v226, v24, v226                              // 00000000637C: 0BC5C518
	v_mul_f32_e32 v227, v24, v227                              // 000000006380: 0BC7C718
	v_mul_f32_dpp v224, v13, v224 row_newbcast:12 row_mask:0xf bank_mask:0xf// 000000006384: 0BC1C0FA FF015C0D
	v_mul_f32_dpp v225, v13, v225 row_newbcast:13 row_mask:0xf bank_mask:0xf// 00000000638C: 0BC3C2FA FF015D0D
	v_mul_f32_dpp v226, v13, v226 row_newbcast:14 row_mask:0xf bank_mask:0xf// 000000006394: 0BC5C4FA FF015E0D
	v_mul_f32_dpp v227, v13, v227 row_newbcast:15 row_mask:0xf bank_mask:0xf// 00000000639C: 0BC7C6FA FF015F0D
	v_mul_f32_e32 v224, v20, v224                              // 0000000063A4: 0BC1C114
	v_mul_f32_e32 v225, v20, v225                              // 0000000063A8: 0BC3C314
	v_mul_f32_e32 v226, v20, v226                              // 0000000063AC: 0BC5C514
	v_mul_f32_e32 v227, v20, v227                              // 0000000063B0: 0BC7C714
	v_mul_f32_e32 v228, v25, v228                              // 0000000063B4: 0BC9C919
	v_mul_f32_e32 v229, v25, v229                              // 0000000063B8: 0BCBCB19
	v_mul_f32_e32 v230, v25, v230                              // 0000000063BC: 0BCDCD19
	v_mul_f32_e32 v231, v25, v231                              // 0000000063C0: 0BCFCF19
	v_mul_f32_dpp v228, v13, v228 row_newbcast:12 row_mask:0xf bank_mask:0xf// 0000000063C4: 0BC9C8FA FF015C0D
	v_mul_f32_dpp v229, v13, v229 row_newbcast:13 row_mask:0xf bank_mask:0xf// 0000000063CC: 0BCBCAFA FF015D0D
	v_mul_f32_dpp v230, v13, v230 row_newbcast:14 row_mask:0xf bank_mask:0xf// 0000000063D4: 0BCDCCFA FF015E0D
	v_mul_f32_dpp v231, v13, v231 row_newbcast:15 row_mask:0xf bank_mask:0xf// 0000000063DC: 0BCFCEFA FF015F0D
	v_mul_f32_e32 v228, v21, v228                              // 0000000063E4: 0BC9C915
	v_mul_f32_e32 v229, v21, v229                              // 0000000063E8: 0BCBCB15
	v_mul_f32_e32 v230, v21, v230                              // 0000000063EC: 0BCDCD15
	v_mul_f32_e32 v231, v21, v231                              // 0000000063F0: 0BCFCF15
	v_cvt_pkrtz_f16_f32 v200, v200, v201                       // 0000000063F4: D29600C8 000393C8
	v_cvt_pkrtz_f16_f32 v201, v202, v203                       // 0000000063FC: D29600C9 000397CA
	v_cvt_pkrtz_f16_f32 v202, v204, v205                       // 000000006404: D29600CA 00039BCC
	v_cvt_pkrtz_f16_f32 v203, v206, v207                       // 00000000640C: D29600CB 00039FCE
	v_cvt_pkrtz_f16_f32 v204, v208, v209                       // 000000006414: D29600CC 0003A3D0
	v_cvt_pkrtz_f16_f32 v205, v210, v211                       // 00000000641C: D29600CD 0003A7D2
	v_cvt_pkrtz_f16_f32 v206, v212, v213                       // 000000006424: D29600CE 0003ABD4
	v_cvt_pkrtz_f16_f32 v207, v214, v215                       // 00000000642C: D29600CF 0003AFD6
	v_cvt_pkrtz_f16_f32 v208, v216, v217                       // 000000006434: D29600D0 0003B3D8
	v_cvt_pkrtz_f16_f32 v209, v218, v219                       // 00000000643C: D29600D1 0003B7DA
	v_cvt_pkrtz_f16_f32 v210, v220, v221                       // 000000006444: D29600D2 0003BBDC
	v_cvt_pkrtz_f16_f32 v211, v222, v223                       // 00000000644C: D29600D3 0003BFDE
	v_cvt_pkrtz_f16_f32 v212, v224, v225                       // 000000006454: D29600D4 0003C3E0
	v_cvt_pkrtz_f16_f32 v213, v226, v227                       // 00000000645C: D29600D5 0003C7E2
	v_cvt_pkrtz_f16_f32 v214, v228, v229                       // 000000006464: D29600D6 0003CBE4
	v_cvt_pkrtz_f16_f32 v215, v230, v231                       // 00000000646C: D29600D7 0003CFE6
	ds_write_b64 v3, v[200:201] offset:28928                   // 000000006474: D89A7100 0000C803
	ds_write_b64 v3, v[202:203] offset:37632                   // 00000000647C: D89A9300 0000CA03
	ds_write_b64 v3, v[204:205] offset:31104                   // 000000006484: D89A7980 0000CC03
	ds_write_b64 v3, v[206:207] offset:39808                   // 00000000648C: D89A9B80 0000CE03
	ds_write_b64 v3, v[208:209] offset:33280                   // 000000006494: D89A8200 0000D003
	ds_write_b64 v3, v[210:211] offset:41984                   // 00000000649C: D89AA400 0000D203
	ds_write_b64 v3, v[212:213] offset:35456                   // 0000000064A4: D89A8A80 0000D403
	ds_write_b64 v3, v[214:215] offset:44160                   // 0000000064AC: D89AAC80 0000D603
	s_waitcnt lgkmcnt(0)                                       // 0000000064B4: BF8CC07F
	s_barrier                                                  // 0000000064B8: BF8A0000
	ds_read_b32 v64, v4 offset:28928                           // 0000000064BC: D86C7100 40000004
	ds_read_b32 v65, v4 offset:33280                           // 0000000064C4: D86C8200 41000004
	ds_read_b32 v66, v4 offset:28960                           // 0000000064CC: D86C7120 42000004
	ds_read_b32 v67, v4 offset:33312                           // 0000000064D4: D86C8220 43000004
	ds_read_b32 v68, v4 offset:28992                           // 0000000064DC: D86C7140 44000004
	ds_read_b32 v69, v4 offset:33344                           // 0000000064E4: D86C8240 45000004
	ds_read_b32 v70, v4 offset:29024                           // 0000000064EC: D86C7160 46000004
	ds_read_b32 v71, v4 offset:33376                           // 0000000064F4: D86C8260 47000004
	ds_read_b32 v72, v4 offset:37632                           // 0000000064FC: D86C9300 48000004
	ds_read_b32 v73, v4 offset:41984                           // 000000006504: D86CA400 49000004
	ds_read_b32 v74, v4 offset:37664                           // 00000000650C: D86C9320 4A000004
	ds_read_b32 v75, v4 offset:42016                           // 000000006514: D86CA420 4B000004
	ds_read_b32 v76, v4 offset:37696                           // 00000000651C: D86C9340 4C000004
	ds_read_b32 v77, v4 offset:42048                           // 000000006524: D86CA440 4D000004
	ds_read_b32 v78, v4 offset:37728                           // 00000000652C: D86C9360 4E000004
	ds_read_b32 v79, v4 offset:42080                           // 000000006534: D86CA460 4F000004
	s_waitcnt lgkmcnt(0)                                       // 00000000653C: BF8CC07F
	s_mov_b64 exec, s[20:21]                                   // 000000006540: BEFE0114
	global_atomic_pk_add_f16 v80, v64, s[8:9]                  // 000000006544: DD388000 00084050
	s_mov_b64 exec, s[36:37]                                   // 00000000654C: BEFE0124
	s_mov_b64 exec, s[20:21]                                   // 000000006550: BEFE0114
	global_atomic_pk_add_f16 v80, v65, s[8:9] offset:256       // 000000006554: DD388100 00084150
	s_mov_b64 exec, s[36:37]                                   // 00000000655C: BEFE0124
	s_mov_b64 exec, s[22:23]                                   // 000000006560: BEFE0116
	global_atomic_pk_add_f16 v82, v66, s[8:9]                  // 000000006564: DD388000 00084252
	s_mov_b64 exec, s[36:37]                                   // 00000000656C: BEFE0124
	s_mov_b64 exec, s[22:23]                                   // 000000006570: BEFE0116
	global_atomic_pk_add_f16 v82, v67, s[8:9] offset:256       // 000000006574: DD388100 00084352
	s_mov_b64 exec, s[36:37]                                   // 00000000657C: BEFE0124
	s_mov_b64 exec, s[24:25]                                   // 000000006580: BEFE0118
	global_atomic_pk_add_f16 v84, v68, s[8:9]                  // 000000006584: DD388000 00084454
	s_mov_b64 exec, s[36:37]                                   // 00000000658C: BEFE0124
	s_mov_b64 exec, s[24:25]                                   // 000000006590: BEFE0118
	global_atomic_pk_add_f16 v84, v69, s[8:9] offset:256       // 000000006594: DD388100 00084554
	s_mov_b64 exec, s[36:37]                                   // 00000000659C: BEFE0124
	s_mov_b64 exec, s[26:27]                                   // 0000000065A0: BEFE011A
	global_atomic_pk_add_f16 v86, v70, s[8:9]                  // 0000000065A4: DD388000 00084656
	s_mov_b64 exec, s[36:37]                                   // 0000000065AC: BEFE0124
	s_mov_b64 exec, s[26:27]                                   // 0000000065B0: BEFE011A
	global_atomic_pk_add_f16 v86, v71, s[8:9] offset:256       // 0000000065B4: DD388100 00084756
	s_mov_b64 exec, s[36:37]                                   // 0000000065BC: BEFE0124
	s_mov_b64 exec, s[28:29]                                   // 0000000065C0: BEFE011C
	global_atomic_pk_add_f16 v88, v72, s[8:9]                  // 0000000065C4: DD388000 00084858
	s_mov_b64 exec, s[36:37]                                   // 0000000065CC: BEFE0124
	s_mov_b64 exec, s[28:29]                                   // 0000000065D0: BEFE011C
	global_atomic_pk_add_f16 v88, v73, s[8:9] offset:256       // 0000000065D4: DD388100 00084958
	s_mov_b64 exec, s[36:37]                                   // 0000000065DC: BEFE0124
	s_mov_b64 exec, s[30:31]                                   // 0000000065E0: BEFE011E
	global_atomic_pk_add_f16 v90, v74, s[8:9]                  // 0000000065E4: DD388000 00084A5A
	s_mov_b64 exec, s[36:37]                                   // 0000000065EC: BEFE0124
	s_mov_b64 exec, s[30:31]                                   // 0000000065F0: BEFE011E
	global_atomic_pk_add_f16 v90, v75, s[8:9] offset:256       // 0000000065F4: DD388100 00084B5A
	s_mov_b64 exec, s[36:37]                                   // 0000000065FC: BEFE0124
	s_mov_b64 exec, s[32:33]                                   // 000000006600: BEFE0120
	global_atomic_pk_add_f16 v92, v76, s[8:9]                  // 000000006604: DD388000 00084C5C
	s_mov_b64 exec, s[36:37]                                   // 00000000660C: BEFE0124
	s_mov_b64 exec, s[32:33]                                   // 000000006610: BEFE0120
	global_atomic_pk_add_f16 v92, v77, s[8:9] offset:256       // 000000006614: DD388100 00084D5C
	s_mov_b64 exec, s[36:37]                                   // 00000000661C: BEFE0124
	s_mov_b64 exec, s[34:35]                                   // 000000006620: BEFE0122
	global_atomic_pk_add_f16 v94, v78, s[8:9]                  // 000000006624: DD388000 00084E5E
	s_mov_b64 exec, s[36:37]                                   // 00000000662C: BEFE0124
	s_mov_b64 exec, s[34:35]                                   // 000000006630: BEFE0122
	global_atomic_pk_add_f16 v94, v79, s[8:9] offset:256       // 000000006634: DD388100 00084F5E
	s_mov_b64 exec, s[36:37]                                   // 00000000663C: BEFE0124
	s_add_u32 s8, s59, s8                                      // 000000006640: 8008083B
	s_addc_u32 s9, 0, s9                                       // 000000006644: 82090980
	s_addk_i32 s80, 0x100                                      // 000000006648: B7500100
	s_cmp_lt_i32 s80, s81                                      // 00000000664C: BF045150
	s_cbranch_scc0 label_0E16                                  // 000000006650: BF840001
	s_branch label_0A21                                        // 000000006654: BF82FC0B

0000000000006658 <label_0E16>:
	s_nop 0                                                    // 000000006658: BF800000
	s_nop 0                                                    // 00000000665C: BF800000
	s_branch label_1984                                        // 000000006660: BF820B6B

0000000000006664 <label_0E19>:
	s_waitcnt vmcnt(12) lgkmcnt(0)                             // 000000006664: BF8C007C
	s_barrier                                                  // 000000006668: BF8A0000
	v_mfma_f32_16x16x32_fp8_fp8 v[128:131], a[0:1], v[168:169], v[128:131]// 00000000666C: D3F30080 0E035100
	buffer_load_dwordx4 a[80:83], v34, s[92:95], 0 offen       // 000000006674: E05C1000 80975022
	v_mfma_f32_16x16x32_fp8_fp8 v[128:131], a[2:3], v[170:171], v[128:131]// 00000000667C: D3F30080 0E035502
	v_mfma_f32_16x16x32_fp8_fp8 v[128:131], a[4:5], v[172:173], v[128:131]// 000000006684: D3F30080 0E035904
	buffer_load_dword v26, s[20:23], 0 offen lds               // 00000000668C: E0511000 8005001A
	s_add_u32 m0, 0x100, s51                                   // 000000006694: 807C33FF 00000100
	v_mfma_f32_16x16x32_fp8_fp8 v[128:131], a[6:7], v[174:175], v[128:131]// 00000000669C: D3F30080 0E035D06
	v_mfma_f32_16x16x32_fp8_fp8 v[128:131], a[8:9], v[176:177], v[128:131]// 0000000066A4: D3F30080 0E036108
	buffer_load_dwordx4 a[84:87], v34, s[92:95], 0 offen offset:1024// 0000000066AC: E05C1400 80975422
	v_mfma_f32_16x16x32_fp8_fp8 v[128:131], a[10:11], v[178:179], v[128:131]// 0000000066B4: D3F30080 0E03650A
	v_mfma_f32_16x16x32_fp8_fp8 v[128:131], a[12:13], v[180:181], v[128:131]// 0000000066BC: D3F30080 0E03690C
	buffer_load_dword v27, s[20:23], 0 offen lds               // 0000000066C4: E0511000 8005001B
	s_add_u32 m0, 0x200, s51                                   // 0000000066CC: 807C33FF 00000200
	v_mfma_f32_16x16x32_fp8_fp8 v[128:131], a[14:15], v[182:183], v[128:131]// 0000000066D4: D3F30080 0E036D0E
	v_mfma_f32_16x16x32_fp8_fp8 v[132:135], a[0:1], v[184:185], v[132:135]// 0000000066DC: D3F30084 0E137100
	buffer_load_dwordx4 a[88:91], v34, s[92:95], 0 offen offset:2048// 0000000066E4: E05C1800 80975822
	v_mfma_f32_16x16x32_fp8_fp8 v[132:135], a[2:3], v[186:187], v[132:135]// 0000000066EC: D3F30084 0E137502
	v_mfma_f32_16x16x32_fp8_fp8 v[132:135], a[4:5], v[188:189], v[132:135]// 0000000066F4: D3F30084 0E137904
	buffer_load_dword v28, s[20:23], 0 offen lds               // 0000000066FC: E0511000 8005001C
	s_add_u32 m0, 0x300, s51                                   // 000000006704: 807C33FF 00000300
	v_mfma_f32_16x16x32_fp8_fp8 v[132:135], a[6:7], v[190:191], v[132:135]// 00000000670C: D3F30084 0E137D06
	v_mfma_f32_16x16x32_fp8_fp8 v[132:135], a[8:9], v[192:193], v[132:135]// 000000006714: D3F30084 0E138108
	buffer_load_dwordx4 a[92:95], v34, s[92:95], 0 offen offset:3072// 00000000671C: E05C1C00 80975C22
	v_mfma_f32_16x16x32_fp8_fp8 v[132:135], a[10:11], v[194:195], v[132:135]// 000000006724: D3F30084 0E13850A
	v_mfma_f32_16x16x32_fp8_fp8 v[132:135], a[12:13], v[196:197], v[132:135]// 00000000672C: D3F30084 0E13890C
	buffer_load_dword v29, s[20:23], 0 offen lds               // 000000006734: E0511000 8005001D
	s_add_u32 m0, 0x400, s51                                   // 00000000673C: 807C33FF 00000400
	v_mfma_f32_16x16x32_fp8_fp8 v[132:135], a[14:15], v[198:199], v[132:135]// 000000006744: D3F30084 0E138D0E
	v_mfma_f32_16x16x32_fp8_fp8 v[136:139], a[16:17], v[168:169], v[136:139]// 00000000674C: D3F30088 0E235110
	buffer_load_dwordx4 a[96:99], v35, s[92:95], 0 offen       // 000000006754: E05C1000 80976023
	v_mfma_f32_16x16x32_fp8_fp8 v[136:139], a[18:19], v[170:171], v[136:139]// 00000000675C: D3F30088 0E235512
	v_mfma_f32_16x16x32_fp8_fp8 v[136:139], a[20:21], v[172:173], v[136:139]// 000000006764: D3F30088 0E235914
	buffer_load_dword v30, s[20:23], 0 offen lds               // 00000000676C: E0511000 8005001E
	s_add_u32 m0, 0x500, s51                                   // 000000006774: 807C33FF 00000500
	v_mfma_f32_16x16x32_fp8_fp8 v[136:139], a[22:23], v[174:175], v[136:139]// 00000000677C: D3F30088 0E235D16
	v_mfma_f32_16x16x32_fp8_fp8 v[136:139], a[24:25], v[176:177], v[136:139]// 000000006784: D3F30088 0E236118
	buffer_load_dwordx4 a[100:103], v35, s[92:95], 0 offen offset:1024// 00000000678C: E05C1400 80976423
	v_mfma_f32_16x16x32_fp8_fp8 v[136:139], a[26:27], v[178:179], v[136:139]// 000000006794: D3F30088 0E23651A
	v_mfma_f32_16x16x32_fp8_fp8 v[136:139], a[28:29], v[180:181], v[136:139]// 00000000679C: D3F30088 0E23691C
	buffer_load_dword v31, s[20:23], 0 offen lds               // 0000000067A4: E0511000 8005001F
	s_add_u32 m0, 0x600, s51                                   // 0000000067AC: 807C33FF 00000600
	v_mfma_f32_16x16x32_fp8_fp8 v[136:139], a[30:31], v[182:183], v[136:139]// 0000000067B4: D3F30088 0E236D1E
	v_mfma_f32_16x16x32_fp8_fp8 v[140:143], a[16:17], v[184:185], v[140:143]// 0000000067BC: D3F3008C 0E337110
	buffer_load_dwordx4 a[104:107], v35, s[92:95], 0 offen offset:2048// 0000000067C4: E05C1800 80976823
	v_mfma_f32_16x16x32_fp8_fp8 v[140:143], a[18:19], v[186:187], v[140:143]// 0000000067CC: D3F3008C 0E337512
	v_mfma_f32_16x16x32_fp8_fp8 v[140:143], a[20:21], v[188:189], v[140:143]// 0000000067D4: D3F3008C 0E337914
	buffer_load_dword v32, s[20:23], 0 offen lds               // 0000000067DC: E0511000 80050020
	s_add_u32 m0, 0x700, s51                                   // 0000000067E4: 807C33FF 00000700
	v_mfma_f32_16x16x32_fp8_fp8 v[140:143], a[22:23], v[190:191], v[140:143]// 0000000067EC: D3F3008C 0E337D16
	v_mfma_f32_16x16x32_fp8_fp8 v[140:143], a[24:25], v[192:193], v[140:143]// 0000000067F4: D3F3008C 0E338118
	buffer_load_dwordx4 a[108:111], v35, s[92:95], 0 offen offset:3072// 0000000067FC: E05C1C00 80976C23
	v_mfma_f32_16x16x32_fp8_fp8 v[140:143], a[26:27], v[194:195], v[140:143]// 000000006804: D3F3008C 0E33851A
	v_mfma_f32_16x16x32_fp8_fp8 v[140:143], a[28:29], v[196:197], v[140:143]// 00000000680C: D3F3008C 0E33891C
	buffer_load_dword v33, s[20:23], 0 offen lds               // 000000006814: E0511000 80050021
	s_add_u32 m0, 0, s50                                       // 00000000681C: 807C3280
	v_mfma_f32_16x16x32_fp8_fp8 v[140:143], a[30:31], v[198:199], v[140:143]// 000000006820: D3F3008C 0E338D1E
	s_waitcnt vmcnt(24)                                        // 000000006828: BF8C4F78
	v_mfma_f32_16x16x32_fp8_fp8 v[144:147], a[32:33], v[168:169], v[144:147]// 00000000682C: D3F30090 0E435120
	buffer_load_dwordx4 a[112:115], v36, s[92:95], 0 offen     // 000000006834: E05C1000 80977024
	v_mfma_f32_16x16x32_fp8_fp8 v[144:147], a[34:35], v[170:171], v[144:147]// 00000000683C: D3F30090 0E435522
	v_mfma_f32_16x16x32_fp8_fp8 v[144:147], a[36:37], v[172:173], v[144:147]// 000000006844: D3F30090 0E435924
	v_mfma_f32_16x16x32_fp8_fp8 v[144:147], a[38:39], v[174:175], v[144:147]// 00000000684C: D3F30090 0E435D26
	v_mfma_f32_16x16x32_fp8_fp8 v[144:147], a[40:41], v[176:177], v[144:147]// 000000006854: D3F30090 0E436128
	buffer_load_dwordx4 a[116:119], v36, s[92:95], 0 offen offset:1024// 00000000685C: E05C1400 80977424
	v_mfma_f32_16x16x32_fp8_fp8 v[144:147], a[42:43], v[178:179], v[144:147]// 000000006864: D3F30090 0E43652A
	v_mfma_f32_16x16x32_fp8_fp8 v[144:147], a[44:45], v[180:181], v[144:147]// 00000000686C: D3F30090 0E43692C
	v_mfma_f32_16x16x32_fp8_fp8 v[144:147], a[46:47], v[182:183], v[144:147]// 000000006874: D3F30090 0E436D2E
	v_mfma_f32_16x16x32_fp8_fp8 v[148:151], a[32:33], v[184:185], v[148:151]// 00000000687C: D3F30094 0E537120
	buffer_load_dwordx4 a[120:123], v36, s[92:95], 0 offen offset:2048// 000000006884: E05C1800 80977824
	v_mfma_f32_16x16x32_fp8_fp8 v[148:151], a[34:35], v[186:187], v[148:151]// 00000000688C: D3F30094 0E537522
	v_mfma_f32_16x16x32_fp8_fp8 v[148:151], a[36:37], v[188:189], v[148:151]// 000000006894: D3F30094 0E537924
	v_mfma_f32_16x16x32_fp8_fp8 v[148:151], a[38:39], v[190:191], v[148:151]// 00000000689C: D3F30094 0E537D26
	v_mfma_f32_16x16x32_fp8_fp8 v[148:151], a[40:41], v[192:193], v[148:151]// 0000000068A4: D3F30094 0E538128
	buffer_load_dwordx4 a[124:127], v36, s[92:95], 0 offen offset:3072// 0000000068AC: E05C1C00 80977C24
	v_mfma_f32_16x16x32_fp8_fp8 v[148:151], a[42:43], v[194:195], v[148:151]// 0000000068B4: D3F30094 0E53852A
	v_mfma_f32_16x16x32_fp8_fp8 v[148:151], a[44:45], v[196:197], v[148:151]// 0000000068BC: D3F30094 0E53892C
	v_mfma_f32_16x16x32_fp8_fp8 v[148:151], a[46:47], v[198:199], v[148:151]// 0000000068C4: D3F30094 0E538D2E
	s_waitcnt vmcnt(24)                                        // 0000000068CC: BF8C4F78
	v_mfma_f32_16x16x32_fp8_fp8 v[152:155], a[48:49], v[168:169], v[152:155]// 0000000068D0: D3F30098 0E635130
	buffer_load_dwordx4 a[128:131], v37, s[92:95], 0 offen     // 0000000068D8: E05C1000 80978025
	v_mfma_f32_16x16x32_fp8_fp8 v[152:155], a[50:51], v[170:171], v[152:155]// 0000000068E0: D3F30098 0E635532
	v_mfma_f32_16x16x32_fp8_fp8 v[152:155], a[52:53], v[172:173], v[152:155]// 0000000068E8: D3F30098 0E635934
	v_mfma_f32_16x16x32_fp8_fp8 v[152:155], a[54:55], v[174:175], v[152:155]// 0000000068F0: D3F30098 0E635D36
	v_mfma_f32_16x16x32_fp8_fp8 v[152:155], a[56:57], v[176:177], v[152:155]// 0000000068F8: D3F30098 0E636138
	buffer_load_dwordx4 a[132:135], v37, s[92:95], 0 offen offset:1024// 000000006900: E05C1400 80978425
	v_mfma_f32_16x16x32_fp8_fp8 v[152:155], a[58:59], v[178:179], v[152:155]// 000000006908: D3F30098 0E63653A
	v_mfma_f32_16x16x32_fp8_fp8 v[152:155], a[60:61], v[180:181], v[152:155]// 000000006910: D3F30098 0E63693C
	v_mfma_f32_16x16x32_fp8_fp8 v[152:155], a[62:63], v[182:183], v[152:155]// 000000006918: D3F30098 0E636D3E
	v_mfma_f32_16x16x32_fp8_fp8 v[156:159], a[48:49], v[184:185], v[156:159]// 000000006920: D3F3009C 0E737130
	buffer_load_dwordx4 a[136:139], v37, s[92:95], 0 offen offset:2048// 000000006928: E05C1800 80978825
	v_mfma_f32_16x16x32_fp8_fp8 v[156:159], a[50:51], v[186:187], v[156:159]// 000000006930: D3F3009C 0E737532
	v_mfma_f32_16x16x32_fp8_fp8 v[156:159], a[52:53], v[188:189], v[156:159]// 000000006938: D3F3009C 0E737934
	v_mfma_f32_16x16x32_fp8_fp8 v[156:159], a[54:55], v[190:191], v[156:159]// 000000006940: D3F3009C 0E737D36
	v_mfma_f32_16x16x32_fp8_fp8 v[156:159], a[56:57], v[192:193], v[156:159]// 000000006948: D3F3009C 0E738138
	buffer_load_dwordx4 a[140:143], v37, s[92:95], 0 offen offset:3072// 000000006950: E05C1C00 80978C25
	v_mfma_f32_16x16x32_fp8_fp8 v[156:159], a[58:59], v[194:195], v[156:159]// 000000006958: D3F3009C 0E73853A
	v_mfma_f32_16x16x32_fp8_fp8 v[156:159], a[60:61], v[196:197], v[156:159]// 000000006960: D3F3009C 0E73893C
	v_mfma_f32_16x16x32_fp8_fp8 v[156:159], a[62:63], v[198:199], v[156:159]// 000000006968: D3F3009C 0E738D3E
	s_waitcnt vmcnt(24)                                        // 000000006970: BF8C4F78
	v_mfma_f32_16x16x32_fp8_fp8 v[160:163], a[64:65], v[168:169], v[160:163]// 000000006974: D3F300A0 0E835140
	buffer_load_dwordx4 a[144:147], v38, s[92:95], 0 offen     // 00000000697C: E05C1000 80979026
	v_mfma_f32_16x16x32_fp8_fp8 v[160:163], a[66:67], v[170:171], v[160:163]// 000000006984: D3F300A0 0E835542
	v_mfma_f32_16x16x32_fp8_fp8 v[160:163], a[68:69], v[172:173], v[160:163]// 00000000698C: D3F300A0 0E835944
	v_mfma_f32_16x16x32_fp8_fp8 v[160:163], a[70:71], v[174:175], v[160:163]// 000000006994: D3F300A0 0E835D46
	v_mfma_f32_16x16x32_fp8_fp8 v[160:163], a[72:73], v[176:177], v[160:163]// 00000000699C: D3F300A0 0E836148
	buffer_load_dwordx4 a[148:151], v38, s[92:95], 0 offen offset:1024// 0000000069A4: E05C1400 80979426
	v_mfma_f32_16x16x32_fp8_fp8 v[160:163], a[74:75], v[178:179], v[160:163]// 0000000069AC: D3F300A0 0E83654A
	v_mfma_f32_16x16x32_fp8_fp8 v[160:163], a[76:77], v[180:181], v[160:163]// 0000000069B4: D3F300A0 0E83694C
	v_mfma_f32_16x16x32_fp8_fp8 v[160:163], a[78:79], v[182:183], v[160:163]// 0000000069BC: D3F300A0 0E836D4E
	v_mfma_f32_16x16x32_fp8_fp8 v[164:167], a[64:65], v[184:185], v[164:167]// 0000000069C4: D3F300A4 0E937140
	buffer_load_dwordx4 a[152:155], v38, s[92:95], 0 offen offset:2048// 0000000069CC: E05C1800 80979826
	v_mfma_f32_16x16x32_fp8_fp8 v[164:167], a[66:67], v[186:187], v[164:167]// 0000000069D4: D3F300A4 0E937542
	v_mfma_f32_16x16x32_fp8_fp8 v[164:167], a[68:69], v[188:189], v[164:167]// 0000000069DC: D3F300A4 0E937944
	v_mfma_f32_16x16x32_fp8_fp8 v[164:167], a[70:71], v[190:191], v[164:167]// 0000000069E4: D3F300A4 0E937D46
	v_mfma_f32_16x16x32_fp8_fp8 v[164:167], a[72:73], v[192:193], v[164:167]// 0000000069EC: D3F300A4 0E938148
	buffer_load_dwordx4 a[156:159], v38, s[92:95], 0 offen offset:3072// 0000000069F4: E05C1C00 80979C26
	v_mfma_f32_16x16x32_fp8_fp8 v[164:167], a[74:75], v[194:195], v[164:167]// 0000000069FC: D3F300A4 0E93854A
	v_mfma_f32_16x16x32_fp8_fp8 v[164:167], a[76:77], v[196:197], v[164:167]// 000000006A04: D3F300A4 0E93894C
	v_mfma_f32_16x16x32_fp8_fp8 v[164:167], a[78:79], v[198:199], v[164:167]// 000000006A0C: D3F300A4 0E938D4E
	s_waitcnt vmcnt(12)                                        // 000000006A14: BF8C0F7C
	s_barrier                                                  // 000000006A18: BF8A0000
	v_mfma_f32_16x16x32_fp8_fp8 v[64:67], a[80:81], v[168:169], v[64:67]// 000000006A1C: D3F30040 0D035150
	buffer_load_dwordx4 a[0:3], v34, s[24:27], 0 offen         // 000000006A24: E05C1000 80860022
	v_mfma_f32_16x16x32_fp8_fp8 v[64:67], a[82:83], v[170:171], v[64:67]// 000000006A2C: D3F30040 0D035552
	v_mfma_f32_16x16x32_fp8_fp8 v[64:67], a[84:85], v[172:173], v[64:67]// 000000006A34: D3F30040 0D035954
	v_mfma_f32_16x16x32_fp8_fp8 v[64:67], a[86:87], v[174:175], v[64:67]// 000000006A3C: D3F30040 0D035D56
	v_mfma_f32_16x16x32_fp8_fp8 v[64:67], a[88:89], v[176:177], v[64:67]// 000000006A44: D3F30040 0D036158
	buffer_load_dwordx4 a[4:7], v34, s[24:27], 0 offen offset:1024// 000000006A4C: E05C1400 80860422
	v_mfma_f32_16x16x32_fp8_fp8 v[64:67], a[90:91], v[178:179], v[64:67]// 000000006A54: D3F30040 0D03655A
	v_mfma_f32_16x16x32_fp8_fp8 v[64:67], a[92:93], v[180:181], v[64:67]// 000000006A5C: D3F30040 0D03695C
	v_mfma_f32_16x16x32_fp8_fp8 v[64:67], a[94:95], v[182:183], v[64:67]// 000000006A64: D3F30040 0D036D5E
	v_mfma_f32_16x16x32_fp8_fp8 v[68:71], a[80:81], v[184:185], v[68:71]// 000000006A6C: D3F30044 0D137150
	buffer_load_dwordx4 a[8:11], v34, s[24:27], 0 offen offset:2048// 000000006A74: E05C1800 80860822
	v_mfma_f32_16x16x32_fp8_fp8 v[68:71], a[82:83], v[186:187], v[68:71]// 000000006A7C: D3F30044 0D137552
	v_mfma_f32_16x16x32_fp8_fp8 v[68:71], a[84:85], v[188:189], v[68:71]// 000000006A84: D3F30044 0D137954
	v_mfma_f32_16x16x32_fp8_fp8 v[68:71], a[86:87], v[190:191], v[68:71]// 000000006A8C: D3F30044 0D137D56
	v_mfma_f32_16x16x32_fp8_fp8 v[68:71], a[88:89], v[192:193], v[68:71]// 000000006A94: D3F30044 0D138158
	buffer_load_dwordx4 a[12:15], v34, s[24:27], 0 offen offset:3072// 000000006A9C: E05C1C00 80860C22
	v_mfma_f32_16x16x32_fp8_fp8 v[68:71], a[90:91], v[194:195], v[68:71]// 000000006AA4: D3F30044 0D13855A
	v_mfma_f32_16x16x32_fp8_fp8 v[68:71], a[92:93], v[196:197], v[68:71]// 000000006AAC: D3F30044 0D13895C
	v_mfma_f32_16x16x32_fp8_fp8 v[68:71], a[94:95], v[198:199], v[68:71]// 000000006AB4: D3F30044 0D138D5E
	v_mfma_f32_16x16x32_fp8_fp8 v[72:75], a[96:97], v[168:169], v[72:75]// 000000006ABC: D3F30048 0D235160
	buffer_load_dwordx4 a[16:19], v35, s[24:27], 0 offen       // 000000006AC4: E05C1000 80861023
	v_mfma_f32_16x16x32_fp8_fp8 v[72:75], a[98:99], v[170:171], v[72:75]// 000000006ACC: D3F30048 0D235562
	v_mfma_f32_16x16x32_fp8_fp8 v[72:75], a[100:101], v[172:173], v[72:75]// 000000006AD4: D3F30048 0D235964
	v_mfma_f32_16x16x32_fp8_fp8 v[72:75], a[102:103], v[174:175], v[72:75]// 000000006ADC: D3F30048 0D235D66
	v_mfma_f32_16x16x32_fp8_fp8 v[72:75], a[104:105], v[176:177], v[72:75]// 000000006AE4: D3F30048 0D236168
	buffer_load_dwordx4 a[20:23], v35, s[24:27], 0 offen offset:1024// 000000006AEC: E05C1400 80861423
	v_mfma_f32_16x16x32_fp8_fp8 v[72:75], a[106:107], v[178:179], v[72:75]// 000000006AF4: D3F30048 0D23656A
	v_mfma_f32_16x16x32_fp8_fp8 v[72:75], a[108:109], v[180:181], v[72:75]// 000000006AFC: D3F30048 0D23696C
	v_mfma_f32_16x16x32_fp8_fp8 v[72:75], a[110:111], v[182:183], v[72:75]// 000000006B04: D3F30048 0D236D6E
	v_mfma_f32_16x16x32_fp8_fp8 v[76:79], a[96:97], v[184:185], v[76:79]// 000000006B0C: D3F3004C 0D337160
	buffer_load_dwordx4 a[24:27], v35, s[24:27], 0 offen offset:2048// 000000006B14: E05C1800 80861823
	v_mfma_f32_16x16x32_fp8_fp8 v[76:79], a[98:99], v[186:187], v[76:79]// 000000006B1C: D3F3004C 0D337562
	v_mfma_f32_16x16x32_fp8_fp8 v[76:79], a[100:101], v[188:189], v[76:79]// 000000006B24: D3F3004C 0D337964
	v_mfma_f32_16x16x32_fp8_fp8 v[76:79], a[102:103], v[190:191], v[76:79]// 000000006B2C: D3F3004C 0D337D66
	v_mfma_f32_16x16x32_fp8_fp8 v[76:79], a[104:105], v[192:193], v[76:79]// 000000006B34: D3F3004C 0D338168
	buffer_load_dwordx4 a[28:31], v35, s[24:27], 0 offen offset:3072// 000000006B3C: E05C1C00 80861C23
	v_mfma_f32_16x16x32_fp8_fp8 v[76:79], a[106:107], v[194:195], v[76:79]// 000000006B44: D3F3004C 0D33856A
	v_mfma_f32_16x16x32_fp8_fp8 v[76:79], a[108:109], v[196:197], v[76:79]// 000000006B4C: D3F3004C 0D33896C
	v_mfma_f32_16x16x32_fp8_fp8 v[76:79], a[110:111], v[198:199], v[76:79]// 000000006B54: D3F3004C 0D338D6E
	s_waitcnt vmcnt(16)                                        // 000000006B5C: BF8C4F70
	v_mfma_f32_16x16x32_fp8_fp8 v[80:83], a[112:113], v[168:169], v[80:83]// 000000006B60: D3F30050 0D435170
	buffer_load_dwordx4 a[32:35], v36, s[24:27], 0 offen       // 000000006B68: E05C1000 80862024
	v_mfma_f32_16x16x32_fp8_fp8 v[80:83], a[114:115], v[170:171], v[80:83]// 000000006B70: D3F30050 0D435572
	v_mfma_f32_16x16x32_fp8_fp8 v[80:83], a[116:117], v[172:173], v[80:83]// 000000006B78: D3F30050 0D435974
	ds_read_b128 v[200:203], v2 offset:8320                    // 000000006B80: D9FE2080 C8000002
	v_mfma_f32_16x16x32_fp8_fp8 v[80:83], a[118:119], v[174:175], v[80:83]// 000000006B88: D3F30050 0D435D76
	v_mfma_f32_16x16x32_fp8_fp8 v[80:83], a[120:121], v[176:177], v[80:83]// 000000006B90: D3F30050 0D436178
	buffer_load_dwordx4 a[36:39], v36, s[24:27], 0 offen offset:1024// 000000006B98: E05C1400 80862424
	v_mfma_f32_16x16x32_fp8_fp8 v[80:83], a[122:123], v[178:179], v[80:83]// 000000006BA0: D3F30050 0D43657A
	v_mfma_f32_16x16x32_fp8_fp8 v[80:83], a[124:125], v[180:181], v[80:83]// 000000006BA8: D3F30050 0D43697C
	ds_read_b128 v[204:207], v2 offset:8384                    // 000000006BB0: D9FE20C0 CC000002
	v_mfma_f32_16x16x32_fp8_fp8 v[80:83], a[126:127], v[182:183], v[80:83]// 000000006BB8: D3F30050 0D436D7E
	v_mfma_f32_16x16x32_fp8_fp8 v[84:87], a[112:113], v[184:185], v[84:87]// 000000006BC0: D3F30054 0D537170
	buffer_load_dwordx4 a[40:43], v36, s[24:27], 0 offen offset:2048// 000000006BC8: E05C1800 80862824
	v_mfma_f32_16x16x32_fp8_fp8 v[84:87], a[114:115], v[186:187], v[84:87]// 000000006BD0: D3F30054 0D537572
	v_mfma_f32_16x16x32_fp8_fp8 v[84:87], a[116:117], v[188:189], v[84:87]// 000000006BD8: D3F30054 0D537974
	ds_read_b128 v[208:211], v2 offset:8448                    // 000000006BE0: D9FE2100 D0000002
	v_mfma_f32_16x16x32_fp8_fp8 v[84:87], a[118:119], v[190:191], v[84:87]// 000000006BE8: D3F30054 0D537D76
	v_mfma_f32_16x16x32_fp8_fp8 v[84:87], a[120:121], v[192:193], v[84:87]// 000000006BF0: D3F30054 0D538178
	buffer_load_dwordx4 a[44:47], v36, s[24:27], 0 offen offset:3072// 000000006BF8: E05C1C00 80862C24
	v_mfma_f32_16x16x32_fp8_fp8 v[84:87], a[122:123], v[194:195], v[84:87]// 000000006C00: D3F30054 0D53857A
	v_mfma_f32_16x16x32_fp8_fp8 v[84:87], a[124:125], v[196:197], v[84:87]// 000000006C08: D3F30054 0D53897C
	ds_read_b128 v[212:215], v2 offset:8512                    // 000000006C10: D9FE2140 D4000002
	v_mfma_f32_16x16x32_fp8_fp8 v[84:87], a[126:127], v[198:199], v[84:87]// 000000006C18: D3F30054 0D538D7E
	s_waitcnt vmcnt(16)                                        // 000000006C20: BF8C4F70
	v_mfma_f32_16x16x32_fp8_fp8 v[88:91], a[128:129], v[168:169], v[88:91]// 000000006C24: D3F30058 0D635180
	buffer_load_dwordx4 a[48:51], v37, s[24:27], 0 offen       // 000000006C2C: E05C1000 80863025
	v_mfma_f32_16x16x32_fp8_fp8 v[88:91], a[130:131], v[170:171], v[88:91]// 000000006C34: D3F30058 0D635582
	v_mfma_f32_16x16x32_fp8_fp8 v[88:91], a[132:133], v[172:173], v[88:91]// 000000006C3C: D3F30058 0D635984
	ds_read_b128 v[216:219], v2 offset:9344                    // 000000006C44: D9FE2480 D8000002
	v_mfma_f32_16x16x32_fp8_fp8 v[88:91], a[134:135], v[174:175], v[88:91]// 000000006C4C: D3F30058 0D635D86
	v_mfma_f32_16x16x32_fp8_fp8 v[88:91], a[136:137], v[176:177], v[88:91]// 000000006C54: D3F30058 0D636188
	buffer_load_dwordx4 a[52:55], v37, s[24:27], 0 offen offset:1024// 000000006C5C: E05C1400 80863425
	v_mfma_f32_16x16x32_fp8_fp8 v[88:91], a[138:139], v[178:179], v[88:91]// 000000006C64: D3F30058 0D63658A
	v_mfma_f32_16x16x32_fp8_fp8 v[88:91], a[140:141], v[180:181], v[88:91]// 000000006C6C: D3F30058 0D63698C
	ds_read_b128 v[220:223], v2 offset:9408                    // 000000006C74: D9FE24C0 DC000002
	v_mfma_f32_16x16x32_fp8_fp8 v[88:91], a[142:143], v[182:183], v[88:91]// 000000006C7C: D3F30058 0D636D8E
	v_mfma_f32_16x16x32_fp8_fp8 v[92:95], a[128:129], v[184:185], v[92:95]// 000000006C84: D3F3005C 0D737180
	buffer_load_dwordx4 a[56:59], v37, s[24:27], 0 offen offset:2048// 000000006C8C: E05C1800 80863825
	v_mfma_f32_16x16x32_fp8_fp8 v[92:95], a[130:131], v[186:187], v[92:95]// 000000006C94: D3F3005C 0D737582
	v_mfma_f32_16x16x32_fp8_fp8 v[92:95], a[132:133], v[188:189], v[92:95]// 000000006C9C: D3F3005C 0D737984
	ds_read_b128 v[224:227], v2 offset:9472                    // 000000006CA4: D9FE2500 E0000002
	v_mfma_f32_16x16x32_fp8_fp8 v[92:95], a[134:135], v[190:191], v[92:95]// 000000006CAC: D3F3005C 0D737D86
	v_mfma_f32_16x16x32_fp8_fp8 v[92:95], a[136:137], v[192:193], v[92:95]// 000000006CB4: D3F3005C 0D738188
	buffer_load_dwordx4 a[60:63], v37, s[24:27], 0 offen offset:3072// 000000006CBC: E05C1C00 80863C25
	v_mfma_f32_16x16x32_fp8_fp8 v[92:95], a[138:139], v[194:195], v[92:95]// 000000006CC4: D3F3005C 0D73858A
	v_mfma_f32_16x16x32_fp8_fp8 v[92:95], a[140:141], v[196:197], v[92:95]// 000000006CCC: D3F3005C 0D73898C
	ds_read_b128 v[228:231], v2 offset:9536                    // 000000006CD4: D9FE2540 E4000002
	v_mfma_f32_16x16x32_fp8_fp8 v[92:95], a[142:143], v[198:199], v[92:95]// 000000006CDC: D3F3005C 0D738D8E
	s_waitcnt vmcnt(16)                                        // 000000006CE4: BF8C4F70
	v_mfma_f32_16x16x32_fp8_fp8 v[96:99], a[144:145], v[168:169], v[96:99]// 000000006CE8: D3F30060 0D835190
	buffer_load_dwordx4 a[64:67], v38, s[24:27], 0 offen       // 000000006CF0: E05C1000 80864026
	v_mfma_f32_16x16x32_fp8_fp8 v[96:99], a[146:147], v[170:171], v[96:99]// 000000006CF8: D3F30060 0D835592
	v_mfma_f32_16x16x32_fp8_fp8 v[96:99], a[148:149], v[172:173], v[96:99]// 000000006D00: D3F30060 0D835994
	v_mfma_f32_16x16x32_fp8_fp8 v[96:99], a[150:151], v[174:175], v[96:99]// 000000006D08: D3F30060 0D835D96
	v_mfma_f32_16x16x32_fp8_fp8 v[96:99], a[152:153], v[176:177], v[96:99]// 000000006D10: D3F30060 0D836198
	buffer_load_dwordx4 a[68:71], v38, s[24:27], 0 offen offset:1024// 000000006D18: E05C1400 80864426
	v_mfma_f32_16x16x32_fp8_fp8 v[96:99], a[154:155], v[178:179], v[96:99]// 000000006D20: D3F30060 0D83659A
	v_mfma_f32_16x16x32_fp8_fp8 v[96:99], a[156:157], v[180:181], v[96:99]// 000000006D28: D3F30060 0D83699C
	v_mfma_f32_16x16x32_fp8_fp8 v[96:99], a[158:159], v[182:183], v[96:99]// 000000006D30: D3F30060 0D836D9E
	v_mfma_f32_16x16x32_fp8_fp8 v[100:103], a[144:145], v[184:185], v[100:103]// 000000006D38: D3F30064 0D937190
	buffer_load_dwordx4 a[72:75], v38, s[24:27], 0 offen offset:2048// 000000006D40: E05C1800 80864826
	v_mfma_f32_16x16x32_fp8_fp8 v[100:103], a[146:147], v[186:187], v[100:103]// 000000006D48: D3F30064 0D937592
	v_mfma_f32_16x16x32_fp8_fp8 v[100:103], a[148:149], v[188:189], v[100:103]// 000000006D50: D3F30064 0D937994
	v_mfma_f32_16x16x32_fp8_fp8 v[100:103], a[150:151], v[190:191], v[100:103]// 000000006D58: D3F30064 0D937D96
	v_mfma_f32_16x16x32_fp8_fp8 v[100:103], a[152:153], v[192:193], v[100:103]// 000000006D60: D3F30064 0D938198
	buffer_load_dwordx4 a[76:79], v38, s[24:27], 0 offen offset:3072// 000000006D68: E05C1C00 80864C26
	v_mfma_f32_16x16x32_fp8_fp8 v[100:103], a[154:155], v[194:195], v[100:103]// 000000006D70: D3F30064 0D93859A
	v_mfma_f32_16x16x32_fp8_fp8 v[100:103], a[156:157], v[196:197], v[100:103]// 000000006D78: D3F30064 0D93899C
	v_mfma_f32_16x16x32_fp8_fp8 v[100:103], a[158:159], v[198:199], v[100:103]// 000000006D80: D3F30064 0D938D9E
	s_add_u32 s60, 0x200, s80                                  // 000000006D88: 803C50FF 00000200
	s_cmp_lt_u32 s60, s81                                      // 000000006D90: BF0A513C
	s_cselect_b32 s57, s57, 0                                  // 000000006D94: 85398039
	s_add_u32 s60, 0x200, s80                                  // 000000006D98: 803C50FF 00000200
	s_cmp_lt_u32 s60, s81                                      // 000000006DA0: BF0A513C
	s_cselect_b32 s58, s58, 0                                  // 000000006DA4: 853A803A
	s_add_u32 s20, s57, s20                                    // 000000006DA8: 80141439
	s_addc_u32 s21, 0, s21                                     // 000000006DAC: 82151580
	s_add_u32 s24, s58, s24                                    // 000000006DB0: 8018183A
	s_addc_u32 s25, 0, s25                                     // 000000006DB4: 82191980
	s_add_u32 s92, s90, s92                                    // 000000006DB8: 805C5C5A
	s_addc_u32 s93, 0, s93                                     // 000000006DBC: 825D5D80
	s_addk_i32 s80, 0x100                                      // 000000006DC0: B7500100
	s_cmp_lt_i32 s80, s81                                      // 000000006DC4: BF045150
	s_cbranch_scc0 label_11CE                                  // 000000006DC8: BF8401DB
	s_waitcnt vmcnt(12) lgkmcnt(0)                             // 000000006DCC: BF8C007C
	s_barrier                                                  // 000000006DD0: BF8A0000
	v_mfma_f32_16x16x32_fp8_fp8 v[128:131], a[0:1], v[200:201], v[128:131]// 000000006DD4: D3F30080 0E039100
	buffer_load_dwordx4 a[80:83], v34, s[92:95], 0 offen       // 000000006DDC: E05C1000 80975022
	v_mfma_f32_16x16x32_fp8_fp8 v[128:131], a[2:3], v[202:203], v[128:131]// 000000006DE4: D3F30080 0E039502
	v_mfma_f32_16x16x32_fp8_fp8 v[128:131], a[4:5], v[204:205], v[128:131]// 000000006DEC: D3F30080 0E039904
	buffer_load_dword v26, s[20:23], 0 offen lds               // 000000006DF4: E0511000 8005001A
	s_add_u32 m0, 0x100, s50                                   // 000000006DFC: 807C32FF 00000100
	v_mfma_f32_16x16x32_fp8_fp8 v[128:131], a[6:7], v[206:207], v[128:131]// 000000006E04: D3F30080 0E039D06
	v_mfma_f32_16x16x32_fp8_fp8 v[128:131], a[8:9], v[208:209], v[128:131]// 000000006E0C: D3F30080 0E03A108
	buffer_load_dwordx4 a[84:87], v34, s[92:95], 0 offen offset:1024// 000000006E14: E05C1400 80975422
	v_mfma_f32_16x16x32_fp8_fp8 v[128:131], a[10:11], v[210:211], v[128:131]// 000000006E1C: D3F30080 0E03A50A
	v_mfma_f32_16x16x32_fp8_fp8 v[128:131], a[12:13], v[212:213], v[128:131]// 000000006E24: D3F30080 0E03A90C
	buffer_load_dword v27, s[20:23], 0 offen lds               // 000000006E2C: E0511000 8005001B
	s_add_u32 m0, 0x200, s50                                   // 000000006E34: 807C32FF 00000200
	v_mfma_f32_16x16x32_fp8_fp8 v[128:131], a[14:15], v[214:215], v[128:131]// 000000006E3C: D3F30080 0E03AD0E
	v_mfma_f32_16x16x32_fp8_fp8 v[132:135], a[0:1], v[216:217], v[132:135]// 000000006E44: D3F30084 0E13B100
	buffer_load_dwordx4 a[88:91], v34, s[92:95], 0 offen offset:2048// 000000006E4C: E05C1800 80975822
	v_mfma_f32_16x16x32_fp8_fp8 v[132:135], a[2:3], v[218:219], v[132:135]// 000000006E54: D3F30084 0E13B502
	v_mfma_f32_16x16x32_fp8_fp8 v[132:135], a[4:5], v[220:221], v[132:135]// 000000006E5C: D3F30084 0E13B904
	buffer_load_dword v28, s[20:23], 0 offen lds               // 000000006E64: E0511000 8005001C
	s_add_u32 m0, 0x300, s50                                   // 000000006E6C: 807C32FF 00000300
	v_mfma_f32_16x16x32_fp8_fp8 v[132:135], a[6:7], v[222:223], v[132:135]// 000000006E74: D3F30084 0E13BD06
	v_mfma_f32_16x16x32_fp8_fp8 v[132:135], a[8:9], v[224:225], v[132:135]// 000000006E7C: D3F30084 0E13C108
	buffer_load_dwordx4 a[92:95], v34, s[92:95], 0 offen offset:3072// 000000006E84: E05C1C00 80975C22
	v_mfma_f32_16x16x32_fp8_fp8 v[132:135], a[10:11], v[226:227], v[132:135]// 000000006E8C: D3F30084 0E13C50A
	v_mfma_f32_16x16x32_fp8_fp8 v[132:135], a[12:13], v[228:229], v[132:135]// 000000006E94: D3F30084 0E13C90C
	buffer_load_dword v29, s[20:23], 0 offen lds               // 000000006E9C: E0511000 8005001D
	s_add_u32 m0, 0x400, s50                                   // 000000006EA4: 807C32FF 00000400
	v_mfma_f32_16x16x32_fp8_fp8 v[132:135], a[14:15], v[230:231], v[132:135]// 000000006EAC: D3F30084 0E13CD0E
	v_mfma_f32_16x16x32_fp8_fp8 v[136:139], a[16:17], v[200:201], v[136:139]// 000000006EB4: D3F30088 0E239110
	buffer_load_dwordx4 a[96:99], v35, s[92:95], 0 offen       // 000000006EBC: E05C1000 80976023
	v_mfma_f32_16x16x32_fp8_fp8 v[136:139], a[18:19], v[202:203], v[136:139]// 000000006EC4: D3F30088 0E239512
	v_mfma_f32_16x16x32_fp8_fp8 v[136:139], a[20:21], v[204:205], v[136:139]// 000000006ECC: D3F30088 0E239914
	buffer_load_dword v30, s[20:23], 0 offen lds               // 000000006ED4: E0511000 8005001E
	s_add_u32 m0, 0x500, s50                                   // 000000006EDC: 807C32FF 00000500
	v_mfma_f32_16x16x32_fp8_fp8 v[136:139], a[22:23], v[206:207], v[136:139]// 000000006EE4: D3F30088 0E239D16
	v_mfma_f32_16x16x32_fp8_fp8 v[136:139], a[24:25], v[208:209], v[136:139]// 000000006EEC: D3F30088 0E23A118
	buffer_load_dwordx4 a[100:103], v35, s[92:95], 0 offen offset:1024// 000000006EF4: E05C1400 80976423
	v_mfma_f32_16x16x32_fp8_fp8 v[136:139], a[26:27], v[210:211], v[136:139]// 000000006EFC: D3F30088 0E23A51A
	v_mfma_f32_16x16x32_fp8_fp8 v[136:139], a[28:29], v[212:213], v[136:139]// 000000006F04: D3F30088 0E23A91C
	buffer_load_dword v31, s[20:23], 0 offen lds               // 000000006F0C: E0511000 8005001F
	s_add_u32 m0, 0x600, s50                                   // 000000006F14: 807C32FF 00000600
	v_mfma_f32_16x16x32_fp8_fp8 v[136:139], a[30:31], v[214:215], v[136:139]// 000000006F1C: D3F30088 0E23AD1E
	v_mfma_f32_16x16x32_fp8_fp8 v[140:143], a[16:17], v[216:217], v[140:143]// 000000006F24: D3F3008C 0E33B110
	buffer_load_dwordx4 a[104:107], v35, s[92:95], 0 offen offset:2048// 000000006F2C: E05C1800 80976823
	v_mfma_f32_16x16x32_fp8_fp8 v[140:143], a[18:19], v[218:219], v[140:143]// 000000006F34: D3F3008C 0E33B512
	v_mfma_f32_16x16x32_fp8_fp8 v[140:143], a[20:21], v[220:221], v[140:143]// 000000006F3C: D3F3008C 0E33B914
	buffer_load_dword v32, s[20:23], 0 offen lds               // 000000006F44: E0511000 80050020
	s_add_u32 m0, 0x700, s50                                   // 000000006F4C: 807C32FF 00000700
	v_mfma_f32_16x16x32_fp8_fp8 v[140:143], a[22:23], v[222:223], v[140:143]// 000000006F54: D3F3008C 0E33BD16
	v_mfma_f32_16x16x32_fp8_fp8 v[140:143], a[24:25], v[224:225], v[140:143]// 000000006F5C: D3F3008C 0E33C118
	buffer_load_dwordx4 a[108:111], v35, s[92:95], 0 offen offset:3072// 000000006F64: E05C1C00 80976C23
	v_mfma_f32_16x16x32_fp8_fp8 v[140:143], a[26:27], v[226:227], v[140:143]// 000000006F6C: D3F3008C 0E33C51A
	v_mfma_f32_16x16x32_fp8_fp8 v[140:143], a[28:29], v[228:229], v[140:143]// 000000006F74: D3F3008C 0E33C91C
	buffer_load_dword v33, s[20:23], 0 offen lds               // 000000006F7C: E0511000 80050021
	s_add_u32 m0, 0, s51                                       // 000000006F84: 807C3380
	v_mfma_f32_16x16x32_fp8_fp8 v[140:143], a[30:31], v[230:231], v[140:143]// 000000006F88: D3F3008C 0E33CD1E
	s_waitcnt vmcnt(24)                                        // 000000006F90: BF8C4F78
	v_mfma_f32_16x16x32_fp8_fp8 v[144:147], a[32:33], v[200:201], v[144:147]// 000000006F94: D3F30090 0E439120
	buffer_load_dwordx4 a[112:115], v36, s[92:95], 0 offen     // 000000006F9C: E05C1000 80977024
	v_mfma_f32_16x16x32_fp8_fp8 v[144:147], a[34:35], v[202:203], v[144:147]// 000000006FA4: D3F30090 0E439522
	v_mfma_f32_16x16x32_fp8_fp8 v[144:147], a[36:37], v[204:205], v[144:147]// 000000006FAC: D3F30090 0E439924
	v_mfma_f32_16x16x32_fp8_fp8 v[144:147], a[38:39], v[206:207], v[144:147]// 000000006FB4: D3F30090 0E439D26
	v_mfma_f32_16x16x32_fp8_fp8 v[144:147], a[40:41], v[208:209], v[144:147]// 000000006FBC: D3F30090 0E43A128
	buffer_load_dwordx4 a[116:119], v36, s[92:95], 0 offen offset:1024// 000000006FC4: E05C1400 80977424
	v_mfma_f32_16x16x32_fp8_fp8 v[144:147], a[42:43], v[210:211], v[144:147]// 000000006FCC: D3F30090 0E43A52A
	v_mfma_f32_16x16x32_fp8_fp8 v[144:147], a[44:45], v[212:213], v[144:147]// 000000006FD4: D3F30090 0E43A92C
	v_mfma_f32_16x16x32_fp8_fp8 v[144:147], a[46:47], v[214:215], v[144:147]// 000000006FDC: D3F30090 0E43AD2E
	v_mfma_f32_16x16x32_fp8_fp8 v[148:151], a[32:33], v[216:217], v[148:151]// 000000006FE4: D3F30094 0E53B120
	buffer_load_dwordx4 a[120:123], v36, s[92:95], 0 offen offset:2048// 000000006FEC: E05C1800 80977824
	v_mfma_f32_16x16x32_fp8_fp8 v[148:151], a[34:35], v[218:219], v[148:151]// 000000006FF4: D3F30094 0E53B522
	v_mfma_f32_16x16x32_fp8_fp8 v[148:151], a[36:37], v[220:221], v[148:151]// 000000006FFC: D3F30094 0E53B924
	v_mfma_f32_16x16x32_fp8_fp8 v[148:151], a[38:39], v[222:223], v[148:151]// 000000007004: D3F30094 0E53BD26
	v_mfma_f32_16x16x32_fp8_fp8 v[148:151], a[40:41], v[224:225], v[148:151]// 00000000700C: D3F30094 0E53C128
	buffer_load_dwordx4 a[124:127], v36, s[92:95], 0 offen offset:3072// 000000007014: E05C1C00 80977C24
	v_mfma_f32_16x16x32_fp8_fp8 v[148:151], a[42:43], v[226:227], v[148:151]// 00000000701C: D3F30094 0E53C52A
	v_mfma_f32_16x16x32_fp8_fp8 v[148:151], a[44:45], v[228:229], v[148:151]// 000000007024: D3F30094 0E53C92C
	v_mfma_f32_16x16x32_fp8_fp8 v[148:151], a[46:47], v[230:231], v[148:151]// 00000000702C: D3F30094 0E53CD2E
	s_waitcnt vmcnt(24)                                        // 000000007034: BF8C4F78
	v_mfma_f32_16x16x32_fp8_fp8 v[152:155], a[48:49], v[200:201], v[152:155]// 000000007038: D3F30098 0E639130
	buffer_load_dwordx4 a[128:131], v37, s[92:95], 0 offen     // 000000007040: E05C1000 80978025
	v_mfma_f32_16x16x32_fp8_fp8 v[152:155], a[50:51], v[202:203], v[152:155]// 000000007048: D3F30098 0E639532
	v_mfma_f32_16x16x32_fp8_fp8 v[152:155], a[52:53], v[204:205], v[152:155]// 000000007050: D3F30098 0E639934
	v_mfma_f32_16x16x32_fp8_fp8 v[152:155], a[54:55], v[206:207], v[152:155]// 000000007058: D3F30098 0E639D36
	v_mfma_f32_16x16x32_fp8_fp8 v[152:155], a[56:57], v[208:209], v[152:155]// 000000007060: D3F30098 0E63A138
	buffer_load_dwordx4 a[132:135], v37, s[92:95], 0 offen offset:1024// 000000007068: E05C1400 80978425
	v_mfma_f32_16x16x32_fp8_fp8 v[152:155], a[58:59], v[210:211], v[152:155]// 000000007070: D3F30098 0E63A53A
	v_mfma_f32_16x16x32_fp8_fp8 v[152:155], a[60:61], v[212:213], v[152:155]// 000000007078: D3F30098 0E63A93C
	v_mfma_f32_16x16x32_fp8_fp8 v[152:155], a[62:63], v[214:215], v[152:155]// 000000007080: D3F30098 0E63AD3E
	v_mfma_f32_16x16x32_fp8_fp8 v[156:159], a[48:49], v[216:217], v[156:159]// 000000007088: D3F3009C 0E73B130
	buffer_load_dwordx4 a[136:139], v37, s[92:95], 0 offen offset:2048// 000000007090: E05C1800 80978825
	v_mfma_f32_16x16x32_fp8_fp8 v[156:159], a[50:51], v[218:219], v[156:159]// 000000007098: D3F3009C 0E73B532
	v_mfma_f32_16x16x32_fp8_fp8 v[156:159], a[52:53], v[220:221], v[156:159]// 0000000070A0: D3F3009C 0E73B934
	v_mfma_f32_16x16x32_fp8_fp8 v[156:159], a[54:55], v[222:223], v[156:159]// 0000000070A8: D3F3009C 0E73BD36
	v_mfma_f32_16x16x32_fp8_fp8 v[156:159], a[56:57], v[224:225], v[156:159]// 0000000070B0: D3F3009C 0E73C138
	buffer_load_dwordx4 a[140:143], v37, s[92:95], 0 offen offset:3072// 0000000070B8: E05C1C00 80978C25
	v_mfma_f32_16x16x32_fp8_fp8 v[156:159], a[58:59], v[226:227], v[156:159]// 0000000070C0: D3F3009C 0E73C53A
	v_mfma_f32_16x16x32_fp8_fp8 v[156:159], a[60:61], v[228:229], v[156:159]// 0000000070C8: D3F3009C 0E73C93C
	v_mfma_f32_16x16x32_fp8_fp8 v[156:159], a[62:63], v[230:231], v[156:159]// 0000000070D0: D3F3009C 0E73CD3E
	s_waitcnt vmcnt(24)                                        // 0000000070D8: BF8C4F78
	v_mfma_f32_16x16x32_fp8_fp8 v[160:163], a[64:65], v[200:201], v[160:163]// 0000000070DC: D3F300A0 0E839140
	buffer_load_dwordx4 a[144:147], v38, s[92:95], 0 offen     // 0000000070E4: E05C1000 80979026
	v_mfma_f32_16x16x32_fp8_fp8 v[160:163], a[66:67], v[202:203], v[160:163]// 0000000070EC: D3F300A0 0E839542
	v_mfma_f32_16x16x32_fp8_fp8 v[160:163], a[68:69], v[204:205], v[160:163]// 0000000070F4: D3F300A0 0E839944
	v_mfma_f32_16x16x32_fp8_fp8 v[160:163], a[70:71], v[206:207], v[160:163]// 0000000070FC: D3F300A0 0E839D46
	v_mfma_f32_16x16x32_fp8_fp8 v[160:163], a[72:73], v[208:209], v[160:163]// 000000007104: D3F300A0 0E83A148
	buffer_load_dwordx4 a[148:151], v38, s[92:95], 0 offen offset:1024// 00000000710C: E05C1400 80979426
	v_mfma_f32_16x16x32_fp8_fp8 v[160:163], a[74:75], v[210:211], v[160:163]// 000000007114: D3F300A0 0E83A54A
	v_mfma_f32_16x16x32_fp8_fp8 v[160:163], a[76:77], v[212:213], v[160:163]// 00000000711C: D3F300A0 0E83A94C
	v_mfma_f32_16x16x32_fp8_fp8 v[160:163], a[78:79], v[214:215], v[160:163]// 000000007124: D3F300A0 0E83AD4E
	v_mfma_f32_16x16x32_fp8_fp8 v[164:167], a[64:65], v[216:217], v[164:167]// 00000000712C: D3F300A4 0E93B140
	buffer_load_dwordx4 a[152:155], v38, s[92:95], 0 offen offset:2048// 000000007134: E05C1800 80979826
	v_mfma_f32_16x16x32_fp8_fp8 v[164:167], a[66:67], v[218:219], v[164:167]// 00000000713C: D3F300A4 0E93B542
	v_mfma_f32_16x16x32_fp8_fp8 v[164:167], a[68:69], v[220:221], v[164:167]// 000000007144: D3F300A4 0E93B944
	v_mfma_f32_16x16x32_fp8_fp8 v[164:167], a[70:71], v[222:223], v[164:167]// 00000000714C: D3F300A4 0E93BD46
	v_mfma_f32_16x16x32_fp8_fp8 v[164:167], a[72:73], v[224:225], v[164:167]// 000000007154: D3F300A4 0E93C148
	buffer_load_dwordx4 a[156:159], v38, s[92:95], 0 offen offset:3072// 00000000715C: E05C1C00 80979C26
	v_mfma_f32_16x16x32_fp8_fp8 v[164:167], a[74:75], v[226:227], v[164:167]// 000000007164: D3F300A4 0E93C54A
	v_mfma_f32_16x16x32_fp8_fp8 v[164:167], a[76:77], v[228:229], v[164:167]// 00000000716C: D3F300A4 0E93C94C
	v_mfma_f32_16x16x32_fp8_fp8 v[164:167], a[78:79], v[230:231], v[164:167]// 000000007174: D3F300A4 0E93CD4E
	s_waitcnt vmcnt(12)                                        // 00000000717C: BF8C0F7C
	s_barrier                                                  // 000000007180: BF8A0000
	v_mfma_f32_16x16x32_fp8_fp8 v[64:67], a[80:81], v[200:201], v[64:67]// 000000007184: D3F30040 0D039150
	buffer_load_dwordx4 a[0:3], v34, s[24:27], 0 offen         // 00000000718C: E05C1000 80860022
	v_mfma_f32_16x16x32_fp8_fp8 v[64:67], a[82:83], v[202:203], v[64:67]// 000000007194: D3F30040 0D039552
	v_mfma_f32_16x16x32_fp8_fp8 v[64:67], a[84:85], v[204:205], v[64:67]// 00000000719C: D3F30040 0D039954
	v_mfma_f32_16x16x32_fp8_fp8 v[64:67], a[86:87], v[206:207], v[64:67]// 0000000071A4: D3F30040 0D039D56
	v_mfma_f32_16x16x32_fp8_fp8 v[64:67], a[88:89], v[208:209], v[64:67]// 0000000071AC: D3F30040 0D03A158
	buffer_load_dwordx4 a[4:7], v34, s[24:27], 0 offen offset:1024// 0000000071B4: E05C1400 80860422
	v_mfma_f32_16x16x32_fp8_fp8 v[64:67], a[90:91], v[210:211], v[64:67]// 0000000071BC: D3F30040 0D03A55A
	v_mfma_f32_16x16x32_fp8_fp8 v[64:67], a[92:93], v[212:213], v[64:67]// 0000000071C4: D3F30040 0D03A95C
	v_mfma_f32_16x16x32_fp8_fp8 v[64:67], a[94:95], v[214:215], v[64:67]// 0000000071CC: D3F30040 0D03AD5E
	v_mfma_f32_16x16x32_fp8_fp8 v[68:71], a[80:81], v[216:217], v[68:71]// 0000000071D4: D3F30044 0D13B150
	buffer_load_dwordx4 a[8:11], v34, s[24:27], 0 offen offset:2048// 0000000071DC: E05C1800 80860822
	v_mfma_f32_16x16x32_fp8_fp8 v[68:71], a[82:83], v[218:219], v[68:71]// 0000000071E4: D3F30044 0D13B552
	v_mfma_f32_16x16x32_fp8_fp8 v[68:71], a[84:85], v[220:221], v[68:71]// 0000000071EC: D3F30044 0D13B954
	v_mfma_f32_16x16x32_fp8_fp8 v[68:71], a[86:87], v[222:223], v[68:71]// 0000000071F4: D3F30044 0D13BD56
	v_mfma_f32_16x16x32_fp8_fp8 v[68:71], a[88:89], v[224:225], v[68:71]// 0000000071FC: D3F30044 0D13C158
	buffer_load_dwordx4 a[12:15], v34, s[24:27], 0 offen offset:3072// 000000007204: E05C1C00 80860C22
	v_mfma_f32_16x16x32_fp8_fp8 v[68:71], a[90:91], v[226:227], v[68:71]// 00000000720C: D3F30044 0D13C55A
	v_mfma_f32_16x16x32_fp8_fp8 v[68:71], a[92:93], v[228:229], v[68:71]// 000000007214: D3F30044 0D13C95C
	v_mfma_f32_16x16x32_fp8_fp8 v[68:71], a[94:95], v[230:231], v[68:71]// 00000000721C: D3F30044 0D13CD5E
	v_mfma_f32_16x16x32_fp8_fp8 v[72:75], a[96:97], v[200:201], v[72:75]// 000000007224: D3F30048 0D239160
	buffer_load_dwordx4 a[16:19], v35, s[24:27], 0 offen       // 00000000722C: E05C1000 80861023
	v_mfma_f32_16x16x32_fp8_fp8 v[72:75], a[98:99], v[202:203], v[72:75]// 000000007234: D3F30048 0D239562
	v_mfma_f32_16x16x32_fp8_fp8 v[72:75], a[100:101], v[204:205], v[72:75]// 00000000723C: D3F30048 0D239964
	v_mfma_f32_16x16x32_fp8_fp8 v[72:75], a[102:103], v[206:207], v[72:75]// 000000007244: D3F30048 0D239D66
	v_mfma_f32_16x16x32_fp8_fp8 v[72:75], a[104:105], v[208:209], v[72:75]// 00000000724C: D3F30048 0D23A168
	buffer_load_dwordx4 a[20:23], v35, s[24:27], 0 offen offset:1024// 000000007254: E05C1400 80861423
	v_mfma_f32_16x16x32_fp8_fp8 v[72:75], a[106:107], v[210:211], v[72:75]// 00000000725C: D3F30048 0D23A56A
	v_mfma_f32_16x16x32_fp8_fp8 v[72:75], a[108:109], v[212:213], v[72:75]// 000000007264: D3F30048 0D23A96C
	v_mfma_f32_16x16x32_fp8_fp8 v[72:75], a[110:111], v[214:215], v[72:75]// 00000000726C: D3F30048 0D23AD6E
	v_mfma_f32_16x16x32_fp8_fp8 v[76:79], a[96:97], v[216:217], v[76:79]// 000000007274: D3F3004C 0D33B160
	buffer_load_dwordx4 a[24:27], v35, s[24:27], 0 offen offset:2048// 00000000727C: E05C1800 80861823
	v_mfma_f32_16x16x32_fp8_fp8 v[76:79], a[98:99], v[218:219], v[76:79]// 000000007284: D3F3004C 0D33B562
	v_mfma_f32_16x16x32_fp8_fp8 v[76:79], a[100:101], v[220:221], v[76:79]// 00000000728C: D3F3004C 0D33B964
	v_mfma_f32_16x16x32_fp8_fp8 v[76:79], a[102:103], v[222:223], v[76:79]// 000000007294: D3F3004C 0D33BD66
	v_mfma_f32_16x16x32_fp8_fp8 v[76:79], a[104:105], v[224:225], v[76:79]// 00000000729C: D3F3004C 0D33C168
	buffer_load_dwordx4 a[28:31], v35, s[24:27], 0 offen offset:3072// 0000000072A4: E05C1C00 80861C23
	v_mfma_f32_16x16x32_fp8_fp8 v[76:79], a[106:107], v[226:227], v[76:79]// 0000000072AC: D3F3004C 0D33C56A
	v_mfma_f32_16x16x32_fp8_fp8 v[76:79], a[108:109], v[228:229], v[76:79]// 0000000072B4: D3F3004C 0D33C96C
	v_mfma_f32_16x16x32_fp8_fp8 v[76:79], a[110:111], v[230:231], v[76:79]// 0000000072BC: D3F3004C 0D33CD6E
	s_waitcnt vmcnt(16)                                        // 0000000072C4: BF8C4F70
	v_mfma_f32_16x16x32_fp8_fp8 v[80:83], a[112:113], v[200:201], v[80:83]// 0000000072C8: D3F30050 0D439170
	buffer_load_dwordx4 a[32:35], v36, s[24:27], 0 offen       // 0000000072D0: E05C1000 80862024
	v_mfma_f32_16x16x32_fp8_fp8 v[80:83], a[114:115], v[202:203], v[80:83]// 0000000072D8: D3F30050 0D439572
	v_mfma_f32_16x16x32_fp8_fp8 v[80:83], a[116:117], v[204:205], v[80:83]// 0000000072E0: D3F30050 0D439974
	ds_read_b128 v[168:171], v2                                // 0000000072E8: D9FE0000 A8000002
	v_mfma_f32_16x16x32_fp8_fp8 v[80:83], a[118:119], v[206:207], v[80:83]// 0000000072F0: D3F30050 0D439D76
	v_mfma_f32_16x16x32_fp8_fp8 v[80:83], a[120:121], v[208:209], v[80:83]// 0000000072F8: D3F30050 0D43A178
	buffer_load_dwordx4 a[36:39], v36, s[24:27], 0 offen offset:1024// 000000007300: E05C1400 80862424
	v_mfma_f32_16x16x32_fp8_fp8 v[80:83], a[122:123], v[210:211], v[80:83]// 000000007308: D3F30050 0D43A57A
	v_mfma_f32_16x16x32_fp8_fp8 v[80:83], a[124:125], v[212:213], v[80:83]// 000000007310: D3F30050 0D43A97C
	ds_read_b128 v[172:175], v2 offset:64                      // 000000007318: D9FE0040 AC000002
	v_mfma_f32_16x16x32_fp8_fp8 v[80:83], a[126:127], v[214:215], v[80:83]// 000000007320: D3F30050 0D43AD7E
	v_mfma_f32_16x16x32_fp8_fp8 v[84:87], a[112:113], v[216:217], v[84:87]// 000000007328: D3F30054 0D53B170
	buffer_load_dwordx4 a[40:43], v36, s[24:27], 0 offen offset:2048// 000000007330: E05C1800 80862824
	v_mfma_f32_16x16x32_fp8_fp8 v[84:87], a[114:115], v[218:219], v[84:87]// 000000007338: D3F30054 0D53B572
	v_mfma_f32_16x16x32_fp8_fp8 v[84:87], a[116:117], v[220:221], v[84:87]// 000000007340: D3F30054 0D53B974
	ds_read_b128 v[176:179], v2 offset:128                     // 000000007348: D9FE0080 B0000002
	v_mfma_f32_16x16x32_fp8_fp8 v[84:87], a[118:119], v[222:223], v[84:87]// 000000007350: D3F30054 0D53BD76
	v_mfma_f32_16x16x32_fp8_fp8 v[84:87], a[120:121], v[224:225], v[84:87]// 000000007358: D3F30054 0D53C178
	buffer_load_dwordx4 a[44:47], v36, s[24:27], 0 offen offset:3072// 000000007360: E05C1C00 80862C24
	v_mfma_f32_16x16x32_fp8_fp8 v[84:87], a[122:123], v[226:227], v[84:87]// 000000007368: D3F30054 0D53C57A
	v_mfma_f32_16x16x32_fp8_fp8 v[84:87], a[124:125], v[228:229], v[84:87]// 000000007370: D3F30054 0D53C97C
	ds_read_b128 v[180:183], v2 offset:192                     // 000000007378: D9FE00C0 B4000002
	v_mfma_f32_16x16x32_fp8_fp8 v[84:87], a[126:127], v[230:231], v[84:87]// 000000007380: D3F30054 0D53CD7E
	s_waitcnt vmcnt(16)                                        // 000000007388: BF8C4F70
	v_mfma_f32_16x16x32_fp8_fp8 v[88:91], a[128:129], v[200:201], v[88:91]// 00000000738C: D3F30058 0D639180
	buffer_load_dwordx4 a[48:51], v37, s[24:27], 0 offen       // 000000007394: E05C1000 80863025
	v_mfma_f32_16x16x32_fp8_fp8 v[88:91], a[130:131], v[202:203], v[88:91]// 00000000739C: D3F30058 0D639582
	v_mfma_f32_16x16x32_fp8_fp8 v[88:91], a[132:133], v[204:205], v[88:91]// 0000000073A4: D3F30058 0D639984
	ds_read_b128 v[184:187], v2 offset:1024                    // 0000000073AC: D9FE0400 B8000002
	v_mfma_f32_16x16x32_fp8_fp8 v[88:91], a[134:135], v[206:207], v[88:91]// 0000000073B4: D3F30058 0D639D86
	v_mfma_f32_16x16x32_fp8_fp8 v[88:91], a[136:137], v[208:209], v[88:91]// 0000000073BC: D3F30058 0D63A188
	buffer_load_dwordx4 a[52:55], v37, s[24:27], 0 offen offset:1024// 0000000073C4: E05C1400 80863425
	v_mfma_f32_16x16x32_fp8_fp8 v[88:91], a[138:139], v[210:211], v[88:91]// 0000000073CC: D3F30058 0D63A58A
	v_mfma_f32_16x16x32_fp8_fp8 v[88:91], a[140:141], v[212:213], v[88:91]// 0000000073D4: D3F30058 0D63A98C
	ds_read_b128 v[188:191], v2 offset:1088                    // 0000000073DC: D9FE0440 BC000002
	v_mfma_f32_16x16x32_fp8_fp8 v[88:91], a[142:143], v[214:215], v[88:91]// 0000000073E4: D3F30058 0D63AD8E
	v_mfma_f32_16x16x32_fp8_fp8 v[92:95], a[128:129], v[216:217], v[92:95]// 0000000073EC: D3F3005C 0D73B180
	buffer_load_dwordx4 a[56:59], v37, s[24:27], 0 offen offset:2048// 0000000073F4: E05C1800 80863825
	v_mfma_f32_16x16x32_fp8_fp8 v[92:95], a[130:131], v[218:219], v[92:95]// 0000000073FC: D3F3005C 0D73B582
	v_mfma_f32_16x16x32_fp8_fp8 v[92:95], a[132:133], v[220:221], v[92:95]// 000000007404: D3F3005C 0D73B984
	ds_read_b128 v[192:195], v2 offset:1152                    // 00000000740C: D9FE0480 C0000002
	v_mfma_f32_16x16x32_fp8_fp8 v[92:95], a[134:135], v[222:223], v[92:95]// 000000007414: D3F3005C 0D73BD86
	v_mfma_f32_16x16x32_fp8_fp8 v[92:95], a[136:137], v[224:225], v[92:95]// 00000000741C: D3F3005C 0D73C188
	buffer_load_dwordx4 a[60:63], v37, s[24:27], 0 offen offset:3072// 000000007424: E05C1C00 80863C25
	v_mfma_f32_16x16x32_fp8_fp8 v[92:95], a[138:139], v[226:227], v[92:95]// 00000000742C: D3F3005C 0D73C58A
	v_mfma_f32_16x16x32_fp8_fp8 v[92:95], a[140:141], v[228:229], v[92:95]// 000000007434: D3F3005C 0D73C98C
	ds_read_b128 v[196:199], v2 offset:1216                    // 00000000743C: D9FE04C0 C4000002
	v_mfma_f32_16x16x32_fp8_fp8 v[92:95], a[142:143], v[230:231], v[92:95]// 000000007444: D3F3005C 0D73CD8E
	s_waitcnt vmcnt(16)                                        // 00000000744C: BF8C4F70
	v_mfma_f32_16x16x32_fp8_fp8 v[96:99], a[144:145], v[200:201], v[96:99]// 000000007450: D3F30060 0D839190
	buffer_load_dwordx4 a[64:67], v38, s[24:27], 0 offen       // 000000007458: E05C1000 80864026
	v_mfma_f32_16x16x32_fp8_fp8 v[96:99], a[146:147], v[202:203], v[96:99]// 000000007460: D3F30060 0D839592
	v_mfma_f32_16x16x32_fp8_fp8 v[96:99], a[148:149], v[204:205], v[96:99]// 000000007468: D3F30060 0D839994
	v_mfma_f32_16x16x32_fp8_fp8 v[96:99], a[150:151], v[206:207], v[96:99]// 000000007470: D3F30060 0D839D96
	v_mfma_f32_16x16x32_fp8_fp8 v[96:99], a[152:153], v[208:209], v[96:99]// 000000007478: D3F30060 0D83A198
	buffer_load_dwordx4 a[68:71], v38, s[24:27], 0 offen offset:1024// 000000007480: E05C1400 80864426
	v_mfma_f32_16x16x32_fp8_fp8 v[96:99], a[154:155], v[210:211], v[96:99]// 000000007488: D3F30060 0D83A59A
	v_mfma_f32_16x16x32_fp8_fp8 v[96:99], a[156:157], v[212:213], v[96:99]// 000000007490: D3F30060 0D83A99C
	v_mfma_f32_16x16x32_fp8_fp8 v[96:99], a[158:159], v[214:215], v[96:99]// 000000007498: D3F30060 0D83AD9E
	v_mfma_f32_16x16x32_fp8_fp8 v[100:103], a[144:145], v[216:217], v[100:103]// 0000000074A0: D3F30064 0D93B190
	buffer_load_dwordx4 a[72:75], v38, s[24:27], 0 offen offset:2048// 0000000074A8: E05C1800 80864826
	v_mfma_f32_16x16x32_fp8_fp8 v[100:103], a[146:147], v[218:219], v[100:103]// 0000000074B0: D3F30064 0D93B592
	v_mfma_f32_16x16x32_fp8_fp8 v[100:103], a[148:149], v[220:221], v[100:103]// 0000000074B8: D3F30064 0D93B994
	v_mfma_f32_16x16x32_fp8_fp8 v[100:103], a[150:151], v[222:223], v[100:103]// 0000000074C0: D3F30064 0D93BD96
	v_mfma_f32_16x16x32_fp8_fp8 v[100:103], a[152:153], v[224:225], v[100:103]// 0000000074C8: D3F30064 0D93C198
	buffer_load_dwordx4 a[76:79], v38, s[24:27], 0 offen offset:3072// 0000000074D0: E05C1C00 80864C26
	v_mfma_f32_16x16x32_fp8_fp8 v[100:103], a[154:155], v[226:227], v[100:103]// 0000000074D8: D3F30064 0D93C59A
	v_mfma_f32_16x16x32_fp8_fp8 v[100:103], a[156:157], v[228:229], v[100:103]// 0000000074E0: D3F30064 0D93C99C
	v_mfma_f32_16x16x32_fp8_fp8 v[100:103], a[158:159], v[230:231], v[100:103]// 0000000074E8: D3F30064 0D93CD9E
	s_add_u32 s60, 0x200, s80                                  // 0000000074F0: 803C50FF 00000200
	s_cmp_lt_u32 s60, s81                                      // 0000000074F8: BF0A513C
	s_cselect_b32 s57, s57, 0                                  // 0000000074FC: 85398039
	s_add_u32 s60, 0x200, s80                                  // 000000007500: 803C50FF 00000200
	s_cmp_lt_u32 s60, s81                                      // 000000007508: BF0A513C
	s_cselect_b32 s58, s58, 0                                  // 00000000750C: 853A803A
	s_add_u32 s20, s57, s20                                    // 000000007510: 80141439
	s_addc_u32 s21, 0, s21                                     // 000000007514: 82151580
	s_add_u32 s24, s58, s24                                    // 000000007518: 8018183A
	s_addc_u32 s25, 0, s25                                     // 00000000751C: 82191980
	s_add_u32 s92, s90, s92                                    // 000000007520: 805C5C5A
	s_addc_u32 s93, 0, s93                                     // 000000007524: 825D5D80
	s_addk_i32 s80, 0x100                                      // 000000007528: B7500100
	s_cmp_lt_i32 s80, s81                                      // 00000000752C: BF045150
	s_cbranch_scc0 label_11CE                                  // 000000007530: BF840001
	s_branch label_0E19                                        // 000000007534: BF82FC4B

0000000000007538 <label_11CE>:
	s_mov_b32 s36, -1                                          // 000000007538: BEA400C1
	s_mov_b32 s37, -1                                          // 00000000753C: BEA500C1
	s_mov_b64 s[60:61], 0                                      // 000000007540: BEBC0180
	s_cmp_lt_u32 s82, s66                                      // 000000007544: BF0A4252
	s_cselect_b64 s[20:21], s[36:37], s[60:61]                 // 000000007548: 85943C24
	s_cmp_lt_u32 s83, s66                                      // 00000000754C: BF0A4253
	s_cselect_b64 s[22:23], s[36:37], s[60:61]                 // 000000007550: 85963C24
	s_cmp_lt_u32 s84, s66                                      // 000000007554: BF0A4254
	s_cselect_b64 s[24:25], s[36:37], s[60:61]                 // 000000007558: 85983C24
	s_cmp_lt_u32 s85, s66                                      // 00000000755C: BF0A4255
	s_cselect_b64 s[26:27], s[36:37], s[60:61]                 // 000000007560: 859A3C24
	s_cmp_lt_u32 s86, s66                                      // 000000007564: BF0A4256
	s_cselect_b64 s[28:29], s[36:37], s[60:61]                 // 000000007568: 859C3C24
	s_cmp_lt_u32 s87, s66                                      // 00000000756C: BF0A4257
	s_cselect_b64 s[30:31], s[36:37], s[60:61]                 // 000000007570: 859E3C24
	s_cmp_lt_u32 s88, s66                                      // 000000007574: BF0A4258
	s_cselect_b64 s[32:33], s[36:37], s[60:61]                 // 000000007578: 85A03C24
	s_cmp_lt_u32 s89, s66                                      // 00000000757C: BF0A4259
	s_cselect_b64 s[34:35], s[36:37], s[60:61]                 // 000000007580: 85A23C24
	v_mul_f32_e32 v128, v14, v128                              // 000000007584: 0B01010E
	v_mul_f32_e32 v129, v14, v129                              // 000000007588: 0B03030E
	v_mul_f32_e32 v130, v14, v130                              // 00000000758C: 0B05050E
	v_mul_f32_e32 v131, v14, v131                              // 000000007590: 0B07070E
	v_mul_f32_dpp v128, v16, v128 row_newbcast:0 row_mask:0xf bank_mask:0xf// 000000007594: 0B0100FA FF015010
	v_mul_f32_dpp v129, v16, v129 row_newbcast:1 row_mask:0xf bank_mask:0xf// 00000000759C: 0B0302FA FF015110
	v_mul_f32_dpp v130, v16, v130 row_newbcast:2 row_mask:0xf bank_mask:0xf// 0000000075A4: 0B0504FA FF015210
	v_mul_f32_dpp v131, v16, v131 row_newbcast:3 row_mask:0xf bank_mask:0xf// 0000000075AC: 0B0706FA FF015310
	v_mul_f32_e32 v132, v15, v132                              // 0000000075B4: 0B09090F
	v_mul_f32_e32 v133, v15, v133                              // 0000000075B8: 0B0B0B0F
	v_mul_f32_e32 v134, v15, v134                              // 0000000075BC: 0B0D0D0F
	v_mul_f32_e32 v135, v15, v135                              // 0000000075C0: 0B0F0F0F
	v_mul_f32_dpp v132, v16, v132 row_newbcast:0 row_mask:0xf bank_mask:0xf// 0000000075C4: 0B0908FA FF015010
	v_mul_f32_dpp v133, v16, v133 row_newbcast:1 row_mask:0xf bank_mask:0xf// 0000000075CC: 0B0B0AFA FF015110
	v_mul_f32_dpp v134, v16, v134 row_newbcast:2 row_mask:0xf bank_mask:0xf// 0000000075D4: 0B0D0CFA FF015210
	v_mul_f32_dpp v135, v16, v135 row_newbcast:3 row_mask:0xf bank_mask:0xf// 0000000075DC: 0B0F0EFA FF015310
	v_mul_f32_e32 v136, v14, v136                              // 0000000075E4: 0B11110E
	v_mul_f32_e32 v137, v14, v137                              // 0000000075E8: 0B13130E
	v_mul_f32_e32 v138, v14, v138                              // 0000000075EC: 0B15150E
	v_mul_f32_e32 v139, v14, v139                              // 0000000075F0: 0B17170E
	v_mul_f32_dpp v136, v16, v136 row_newbcast:4 row_mask:0xf bank_mask:0xf// 0000000075F4: 0B1110FA FF015410
	v_mul_f32_dpp v137, v16, v137 row_newbcast:5 row_mask:0xf bank_mask:0xf// 0000000075FC: 0B1312FA FF015510
	v_mul_f32_dpp v138, v16, v138 row_newbcast:6 row_mask:0xf bank_mask:0xf// 000000007604: 0B1514FA FF015610
	v_mul_f32_dpp v139, v16, v139 row_newbcast:7 row_mask:0xf bank_mask:0xf// 00000000760C: 0B1716FA FF015710
	v_mul_f32_e32 v140, v15, v140                              // 000000007614: 0B19190F
	v_mul_f32_e32 v141, v15, v141                              // 000000007618: 0B1B1B0F
	v_mul_f32_e32 v142, v15, v142                              // 00000000761C: 0B1D1D0F
	v_mul_f32_e32 v143, v15, v143                              // 000000007620: 0B1F1F0F
	v_mul_f32_dpp v140, v16, v140 row_newbcast:4 row_mask:0xf bank_mask:0xf// 000000007624: 0B1918FA FF015410
	v_mul_f32_dpp v141, v16, v141 row_newbcast:5 row_mask:0xf bank_mask:0xf// 00000000762C: 0B1B1AFA FF015510
	v_mul_f32_dpp v142, v16, v142 row_newbcast:6 row_mask:0xf bank_mask:0xf// 000000007634: 0B1D1CFA FF015610
	v_mul_f32_dpp v143, v16, v143 row_newbcast:7 row_mask:0xf bank_mask:0xf// 00000000763C: 0B1F1EFA FF015710
	v_mul_f32_e32 v144, v14, v144                              // 000000007644: 0B21210E
	v_mul_f32_e32 v145, v14, v145                              // 000000007648: 0B23230E
	v_mul_f32_e32 v146, v14, v146                              // 00000000764C: 0B25250E
	v_mul_f32_e32 v147, v14, v147                              // 000000007650: 0B27270E
	v_mul_f32_dpp v144, v16, v144 row_newbcast:8 row_mask:0xf bank_mask:0xf// 000000007654: 0B2120FA FF015810
	v_mul_f32_dpp v145, v16, v145 row_newbcast:9 row_mask:0xf bank_mask:0xf// 00000000765C: 0B2322FA FF015910
	v_mul_f32_dpp v146, v16, v146 row_newbcast:10 row_mask:0xf bank_mask:0xf// 000000007664: 0B2524FA FF015A10
	v_mul_f32_dpp v147, v16, v147 row_newbcast:11 row_mask:0xf bank_mask:0xf// 00000000766C: 0B2726FA FF015B10
	v_mul_f32_e32 v148, v15, v148                              // 000000007674: 0B29290F
	v_mul_f32_e32 v149, v15, v149                              // 000000007678: 0B2B2B0F
	v_mul_f32_e32 v150, v15, v150                              // 00000000767C: 0B2D2D0F
	v_mul_f32_e32 v151, v15, v151                              // 000000007680: 0B2F2F0F
	v_mul_f32_dpp v148, v16, v148 row_newbcast:8 row_mask:0xf bank_mask:0xf// 000000007684: 0B2928FA FF015810
	v_mul_f32_dpp v149, v16, v149 row_newbcast:9 row_mask:0xf bank_mask:0xf// 00000000768C: 0B2B2AFA FF015910
	v_mul_f32_dpp v150, v16, v150 row_newbcast:10 row_mask:0xf bank_mask:0xf// 000000007694: 0B2D2CFA FF015A10
	v_mul_f32_dpp v151, v16, v151 row_newbcast:11 row_mask:0xf bank_mask:0xf// 00000000769C: 0B2F2EFA FF015B10
	v_mul_f32_e32 v152, v14, v152                              // 0000000076A4: 0B31310E
	v_mul_f32_e32 v153, v14, v153                              // 0000000076A8: 0B33330E
	v_mul_f32_e32 v154, v14, v154                              // 0000000076AC: 0B35350E
	v_mul_f32_e32 v155, v14, v155                              // 0000000076B0: 0B37370E
	v_mul_f32_dpp v152, v16, v152 row_newbcast:12 row_mask:0xf bank_mask:0xf// 0000000076B4: 0B3130FA FF015C10
	v_mul_f32_dpp v153, v16, v153 row_newbcast:13 row_mask:0xf bank_mask:0xf// 0000000076BC: 0B3332FA FF015D10
	v_mul_f32_dpp v154, v16, v154 row_newbcast:14 row_mask:0xf bank_mask:0xf// 0000000076C4: 0B3534FA FF015E10
	v_mul_f32_dpp v155, v16, v155 row_newbcast:15 row_mask:0xf bank_mask:0xf// 0000000076CC: 0B3736FA FF015F10
	v_mul_f32_e32 v156, v15, v156                              // 0000000076D4: 0B39390F
	v_mul_f32_e32 v157, v15, v157                              // 0000000076D8: 0B3B3B0F
	v_mul_f32_e32 v158, v15, v158                              // 0000000076DC: 0B3D3D0F
	v_mul_f32_e32 v159, v15, v159                              // 0000000076E0: 0B3F3F0F
	v_mul_f32_dpp v156, v16, v156 row_newbcast:12 row_mask:0xf bank_mask:0xf// 0000000076E4: 0B3938FA FF015C10
	v_mul_f32_dpp v157, v16, v157 row_newbcast:13 row_mask:0xf bank_mask:0xf// 0000000076EC: 0B3B3AFA FF015D10
	v_mul_f32_dpp v158, v16, v158 row_newbcast:14 row_mask:0xf bank_mask:0xf// 0000000076F4: 0B3D3CFA FF015E10
	v_mul_f32_dpp v159, v16, v159 row_newbcast:15 row_mask:0xf bank_mask:0xf// 0000000076FC: 0B3F3EFA FF015F10
	v_mul_f32_e32 v160, v14, v160                              // 000000007704: 0B41410E
	v_mul_f32_e32 v161, v14, v161                              // 000000007708: 0B43430E
	v_mul_f32_e32 v162, v14, v162                              // 00000000770C: 0B45450E
	v_mul_f32_e32 v163, v14, v163                              // 000000007710: 0B47470E
	v_mul_f32_dpp v160, v17, v160 row_newbcast:0 row_mask:0xf bank_mask:0xf// 000000007714: 0B4140FA FF015011
	v_mul_f32_dpp v161, v17, v161 row_newbcast:1 row_mask:0xf bank_mask:0xf// 00000000771C: 0B4342FA FF015111
	v_mul_f32_dpp v162, v17, v162 row_newbcast:2 row_mask:0xf bank_mask:0xf// 000000007724: 0B4544FA FF015211
	v_mul_f32_dpp v163, v17, v163 row_newbcast:3 row_mask:0xf bank_mask:0xf// 00000000772C: 0B4746FA FF015311
	v_mul_f32_e32 v164, v15, v164                              // 000000007734: 0B49490F
	v_mul_f32_e32 v165, v15, v165                              // 000000007738: 0B4B4B0F
	v_mul_f32_e32 v166, v15, v166                              // 00000000773C: 0B4D4D0F
	v_mul_f32_e32 v167, v15, v167                              // 000000007740: 0B4F4F0F
	v_mul_f32_dpp v164, v17, v164 row_newbcast:0 row_mask:0xf bank_mask:0xf// 000000007744: 0B4948FA FF015011
	v_mul_f32_dpp v165, v17, v165 row_newbcast:1 row_mask:0xf bank_mask:0xf// 00000000774C: 0B4B4AFA FF015111
	v_mul_f32_dpp v166, v17, v166 row_newbcast:2 row_mask:0xf bank_mask:0xf// 000000007754: 0B4D4CFA FF015211
	v_mul_f32_dpp v167, v17, v167 row_newbcast:3 row_mask:0xf bank_mask:0xf// 00000000775C: 0B4F4EFA FF015311
	v_mul_f32_e32 v64, v14, v64                                // 000000007764: 0A80810E
	v_mul_f32_e32 v65, v14, v65                                // 000000007768: 0A82830E
	v_mul_f32_e32 v66, v14, v66                                // 00000000776C: 0A84850E
	v_mul_f32_e32 v67, v14, v67                                // 000000007770: 0A86870E
	v_mul_f32_dpp v64, v47, v64 row_newbcast:0 row_mask:0xf bank_mask:0xf// 000000007774: 0A8080FA FF01502F
	v_mul_f32_dpp v65, v47, v65 row_newbcast:1 row_mask:0xf bank_mask:0xf// 00000000777C: 0A8282FA FF01512F
	v_mul_f32_dpp v66, v47, v66 row_newbcast:2 row_mask:0xf bank_mask:0xf// 000000007784: 0A8484FA FF01522F
	v_mul_f32_dpp v67, v47, v67 row_newbcast:3 row_mask:0xf bank_mask:0xf// 00000000778C: 0A8686FA FF01532F
	v_mul_f32_e32 v68, v15, v68                                // 000000007794: 0A88890F
	v_mul_f32_e32 v69, v15, v69                                // 000000007798: 0A8A8B0F
	v_mul_f32_e32 v70, v15, v70                                // 00000000779C: 0A8C8D0F
	v_mul_f32_e32 v71, v15, v71                                // 0000000077A0: 0A8E8F0F
	v_mul_f32_dpp v68, v47, v68 row_newbcast:0 row_mask:0xf bank_mask:0xf// 0000000077A4: 0A8888FA FF01502F
	v_mul_f32_dpp v69, v47, v69 row_newbcast:1 row_mask:0xf bank_mask:0xf// 0000000077AC: 0A8A8AFA FF01512F
	v_mul_f32_dpp v70, v47, v70 row_newbcast:2 row_mask:0xf bank_mask:0xf// 0000000077B4: 0A8C8CFA FF01522F
	v_mul_f32_dpp v71, v47, v71 row_newbcast:3 row_mask:0xf bank_mask:0xf// 0000000077BC: 0A8E8EFA FF01532F
	v_mul_f32_e32 v72, v14, v72                                // 0000000077C4: 0A90910E
	v_mul_f32_e32 v73, v14, v73                                // 0000000077C8: 0A92930E
	v_mul_f32_e32 v74, v14, v74                                // 0000000077CC: 0A94950E
	v_mul_f32_e32 v75, v14, v75                                // 0000000077D0: 0A96970E
	v_mul_f32_dpp v72, v47, v72 row_newbcast:4 row_mask:0xf bank_mask:0xf// 0000000077D4: 0A9090FA FF01542F
	v_mul_f32_dpp v73, v47, v73 row_newbcast:5 row_mask:0xf bank_mask:0xf// 0000000077DC: 0A9292FA FF01552F
	v_mul_f32_dpp v74, v47, v74 row_newbcast:6 row_mask:0xf bank_mask:0xf// 0000000077E4: 0A9494FA FF01562F
	v_mul_f32_dpp v75, v47, v75 row_newbcast:7 row_mask:0xf bank_mask:0xf// 0000000077EC: 0A9696FA FF01572F
	v_mul_f32_e32 v76, v15, v76                                // 0000000077F4: 0A98990F
	v_mul_f32_e32 v77, v15, v77                                // 0000000077F8: 0A9A9B0F
	v_mul_f32_e32 v78, v15, v78                                // 0000000077FC: 0A9C9D0F
	v_mul_f32_e32 v79, v15, v79                                // 000000007800: 0A9E9F0F
	v_mul_f32_dpp v76, v47, v76 row_newbcast:4 row_mask:0xf bank_mask:0xf// 000000007804: 0A9898FA FF01542F
	v_mul_f32_dpp v77, v47, v77 row_newbcast:5 row_mask:0xf bank_mask:0xf// 00000000780C: 0A9A9AFA FF01552F
	v_mul_f32_dpp v78, v47, v78 row_newbcast:6 row_mask:0xf bank_mask:0xf// 000000007814: 0A9C9CFA FF01562F
	v_mul_f32_dpp v79, v47, v79 row_newbcast:7 row_mask:0xf bank_mask:0xf// 00000000781C: 0A9E9EFA FF01572F
	v_mul_f32_e32 v80, v14, v80                                // 000000007824: 0AA0A10E
	v_mul_f32_e32 v81, v14, v81                                // 000000007828: 0AA2A30E
	v_mul_f32_e32 v82, v14, v82                                // 00000000782C: 0AA4A50E
	v_mul_f32_e32 v83, v14, v83                                // 000000007830: 0AA6A70E
	v_mul_f32_dpp v80, v47, v80 row_newbcast:8 row_mask:0xf bank_mask:0xf// 000000007834: 0AA0A0FA FF01582F
	v_mul_f32_dpp v81, v47, v81 row_newbcast:9 row_mask:0xf bank_mask:0xf// 00000000783C: 0AA2A2FA FF01592F
	v_mul_f32_dpp v82, v47, v82 row_newbcast:10 row_mask:0xf bank_mask:0xf// 000000007844: 0AA4A4FA FF015A2F
	v_mul_f32_dpp v83, v47, v83 row_newbcast:11 row_mask:0xf bank_mask:0xf// 00000000784C: 0AA6A6FA FF015B2F
	v_mul_f32_e32 v84, v15, v84                                // 000000007854: 0AA8A90F
	v_mul_f32_e32 v85, v15, v85                                // 000000007858: 0AAAAB0F
	v_mul_f32_e32 v86, v15, v86                                // 00000000785C: 0AACAD0F
	v_mul_f32_e32 v87, v15, v87                                // 000000007860: 0AAEAF0F
	v_mul_f32_dpp v84, v47, v84 row_newbcast:8 row_mask:0xf bank_mask:0xf// 000000007864: 0AA8A8FA FF01582F
	v_mul_f32_dpp v85, v47, v85 row_newbcast:9 row_mask:0xf bank_mask:0xf// 00000000786C: 0AAAAAFA FF01592F
	v_mul_f32_dpp v86, v47, v86 row_newbcast:10 row_mask:0xf bank_mask:0xf// 000000007874: 0AACACFA FF015A2F
	v_mul_f32_dpp v87, v47, v87 row_newbcast:11 row_mask:0xf bank_mask:0xf// 00000000787C: 0AAEAEFA FF015B2F
	v_mul_f32_e32 v88, v14, v88                                // 000000007884: 0AB0B10E
	v_mul_f32_e32 v89, v14, v89                                // 000000007888: 0AB2B30E
	v_mul_f32_e32 v90, v14, v90                                // 00000000788C: 0AB4B50E
	v_mul_f32_e32 v91, v14, v91                                // 000000007890: 0AB6B70E
	v_mul_f32_dpp v88, v47, v88 row_newbcast:12 row_mask:0xf bank_mask:0xf// 000000007894: 0AB0B0FA FF015C2F
	v_mul_f32_dpp v89, v47, v89 row_newbcast:13 row_mask:0xf bank_mask:0xf// 00000000789C: 0AB2B2FA FF015D2F
	v_mul_f32_dpp v90, v47, v90 row_newbcast:14 row_mask:0xf bank_mask:0xf// 0000000078A4: 0AB4B4FA FF015E2F
	v_mul_f32_dpp v91, v47, v91 row_newbcast:15 row_mask:0xf bank_mask:0xf// 0000000078AC: 0AB6B6FA FF015F2F
	v_mul_f32_e32 v92, v15, v92                                // 0000000078B4: 0AB8B90F
	v_mul_f32_e32 v93, v15, v93                                // 0000000078B8: 0ABABB0F
	v_mul_f32_e32 v94, v15, v94                                // 0000000078BC: 0ABCBD0F
	v_mul_f32_e32 v95, v15, v95                                // 0000000078C0: 0ABEBF0F
	v_mul_f32_dpp v92, v47, v92 row_newbcast:12 row_mask:0xf bank_mask:0xf// 0000000078C4: 0AB8B8FA FF015C2F
	v_mul_f32_dpp v93, v47, v93 row_newbcast:13 row_mask:0xf bank_mask:0xf// 0000000078CC: 0ABABAFA FF015D2F
	v_mul_f32_dpp v94, v47, v94 row_newbcast:14 row_mask:0xf bank_mask:0xf// 0000000078D4: 0ABCBCFA FF015E2F
	v_mul_f32_dpp v95, v47, v95 row_newbcast:15 row_mask:0xf bank_mask:0xf// 0000000078DC: 0ABEBEFA FF015F2F
	v_mul_f32_e32 v96, v14, v96                                // 0000000078E4: 0AC0C10E
	v_mul_f32_e32 v97, v14, v97                                // 0000000078E8: 0AC2C30E
	v_mul_f32_e32 v98, v14, v98                                // 0000000078EC: 0AC4C50E
	v_mul_f32_e32 v99, v14, v99                                // 0000000078F0: 0AC6C70E
	v_mul_f32_dpp v96, v48, v96 row_newbcast:0 row_mask:0xf bank_mask:0xf// 0000000078F4: 0AC0C0FA FF015030
	v_mul_f32_dpp v97, v48, v97 row_newbcast:1 row_mask:0xf bank_mask:0xf// 0000000078FC: 0AC2C2FA FF015130
	v_mul_f32_dpp v98, v48, v98 row_newbcast:2 row_mask:0xf bank_mask:0xf// 000000007904: 0AC4C4FA FF015230
	v_mul_f32_dpp v99, v48, v99 row_newbcast:3 row_mask:0xf bank_mask:0xf// 00000000790C: 0AC6C6FA FF015330
	v_mul_f32_e32 v100, v15, v100                              // 000000007914: 0AC8C90F
	v_mul_f32_e32 v101, v15, v101                              // 000000007918: 0ACACB0F
	v_mul_f32_e32 v102, v15, v102                              // 00000000791C: 0ACCCD0F
	v_mul_f32_e32 v103, v15, v103                              // 000000007920: 0ACECF0F
	v_mul_f32_dpp v100, v48, v100 row_newbcast:0 row_mask:0xf bank_mask:0xf// 000000007924: 0AC8C8FA FF015030
	v_mul_f32_dpp v101, v48, v101 row_newbcast:1 row_mask:0xf bank_mask:0xf// 00000000792C: 0ACACAFA FF015130
	v_mul_f32_dpp v102, v48, v102 row_newbcast:2 row_mask:0xf bank_mask:0xf// 000000007934: 0ACCCCFA FF015230
	v_mul_f32_dpp v103, v48, v103 row_newbcast:3 row_mask:0xf bank_mask:0xf// 00000000793C: 0ACECEFA FF015330
	s_waitcnt vmcnt(16)                                        // 000000007944: BF8C4F70
	buffer_load_dwordx4 a[0:3], v39, s[12:15], 0 offen         // 000000007948: E05C1000 80830027
	v_mul_f32_e64 v50, -v128, s6                               // 000000007950: D1050032 20000D80
	v_mul_f32_e64 v51, -v129, s6                               // 000000007958: D1050033 20000D81
	v_mul_f32_e64 v52, -v130, s6                               // 000000007960: D1050034 20000D82
	v_mul_f32_e64 v53, -v131, s6                               // 000000007968: D1050035 20000D83
	v_exp_f32_e32 v50, v50                                     // 000000007970: 7E644132
	v_exp_f32_e32 v51, v51                                     // 000000007974: 7E664133
	v_exp_f32_e32 v52, v52                                     // 000000007978: 7E684134
	v_exp_f32_e32 v53, v53                                     // 00000000797C: 7E6A4135
	buffer_load_dwordx4 a[4:7], v40, s[12:15], 0 offen         // 000000007980: E05C1000 80830428
	v_add_f32_e64 v50, v50, 1.0                                // 000000007988: D1010032 0001E532
	v_add_f32_e64 v51, v51, 1.0                                // 000000007990: D1010033 0001E533
	v_add_f32_e64 v52, v52, 1.0                                // 000000007998: D1010034 0001E534
	v_add_f32_e64 v53, v53, 1.0                                // 0000000079A0: D1010035 0001E535
	v_rcp_f32_e32 v50, v50                                     // 0000000079A8: 7E644532
	v_rcp_f32_e32 v51, v51                                     // 0000000079AC: 7E664533
	v_rcp_f32_e32 v52, v52                                     // 0000000079B0: 7E684534
	v_rcp_f32_e32 v53, v53                                     // 0000000079B4: 7E6A4535
	v_mul_f32_e32 v128, v128, v50                              // 0000000079B8: 0B006580
	v_mul_f32_e32 v129, v129, v51                              // 0000000079BC: 0B026781
	v_mul_f32_e32 v130, v130, v52                              // 0000000079C0: 0B046982
	v_mul_f32_e32 v131, v131, v53                              // 0000000079C4: 0B066B83
	v_mul_f32_e32 v128, v128, v64                              // 0000000079C8: 0B008180
	v_mul_f32_e32 v129, v129, v65                              // 0000000079CC: 0B028381
	v_mul_f32_e32 v130, v130, v66                              // 0000000079D0: 0B048582
	v_mul_f32_e32 v131, v131, v67                              // 0000000079D4: 0B068783
	buffer_load_dwordx4 a[8:11], v41, s[12:15], 0 offen        // 0000000079D8: E05C1000 80830829
	v_mul_f32_e64 v50, -v132, s6                               // 0000000079E0: D1050032 20000D84
	v_mul_f32_e64 v51, -v133, s6                               // 0000000079E8: D1050033 20000D85
	v_mul_f32_e64 v52, -v134, s6                               // 0000000079F0: D1050034 20000D86
	v_mul_f32_e64 v53, -v135, s6                               // 0000000079F8: D1050035 20000D87
	v_exp_f32_e32 v50, v50                                     // 000000007A00: 7E644132
	v_exp_f32_e32 v51, v51                                     // 000000007A04: 7E664133
	v_exp_f32_e32 v52, v52                                     // 000000007A08: 7E684134
	v_exp_f32_e32 v53, v53                                     // 000000007A0C: 7E6A4135
	buffer_load_dwordx4 a[12:15], v42, s[12:15], 0 offen       // 000000007A10: E05C1000 80830C2A
	s_add_u32 s12, s78, s12                                    // 000000007A18: 800C0C4E
	s_addc_u32 s13, 0, s13                                     // 000000007A1C: 820D0D80
	v_add_f32_e64 v50, v50, 1.0                                // 000000007A20: D1010032 0001E532
	v_add_f32_e64 v51, v51, 1.0                                // 000000007A28: D1010033 0001E533
	v_add_f32_e64 v52, v52, 1.0                                // 000000007A30: D1010034 0001E534
	v_add_f32_e64 v53, v53, 1.0                                // 000000007A38: D1010035 0001E535
	v_rcp_f32_e32 v50, v50                                     // 000000007A40: 7E644532
	v_rcp_f32_e32 v51, v51                                     // 000000007A44: 7E664533
	v_rcp_f32_e32 v52, v52                                     // 000000007A48: 7E684534
	v_rcp_f32_e32 v53, v53                                     // 000000007A4C: 7E6A4535
	v_mul_f32_e32 v132, v132, v50                              // 000000007A50: 0B086584
	v_mul_f32_e32 v133, v133, v51                              // 000000007A54: 0B0A6785
	v_mul_f32_e32 v134, v134, v52                              // 000000007A58: 0B0C6986
	v_mul_f32_e32 v135, v135, v53                              // 000000007A5C: 0B0E6B87
	v_mul_f32_e32 v132, v132, v68                              // 000000007A60: 0B088984
	v_mul_f32_e32 v133, v133, v69                              // 000000007A64: 0B0A8B85
	v_mul_f32_e32 v134, v134, v70                              // 000000007A68: 0B0C8D86
	v_mul_f32_e32 v135, v135, v71                              // 000000007A6C: 0B0E8F87
	s_waitcnt vmcnt(16)                                        // 000000007A70: BF8C4F70
	buffer_load_dwordx4 a[16:19], v39, s[12:15], 0 offen       // 000000007A74: E05C1000 80831027
	v_mul_f32_e64 v50, -v136, s6                               // 000000007A7C: D1050032 20000D88
	v_mul_f32_e64 v51, -v137, s6                               // 000000007A84: D1050033 20000D89
	v_mul_f32_e64 v52, -v138, s6                               // 000000007A8C: D1050034 20000D8A
	v_mul_f32_e64 v53, -v139, s6                               // 000000007A94: D1050035 20000D8B
	v_exp_f32_e32 v50, v50                                     // 000000007A9C: 7E644132
	v_exp_f32_e32 v51, v51                                     // 000000007AA0: 7E664133
	v_exp_f32_e32 v52, v52                                     // 000000007AA4: 7E684134
	v_exp_f32_e32 v53, v53                                     // 000000007AA8: 7E6A4135
	buffer_load_dwordx4 a[20:23], v40, s[12:15], 0 offen       // 000000007AAC: E05C1000 80831428
	v_add_f32_e64 v50, v50, 1.0                                // 000000007AB4: D1010032 0001E532
	v_add_f32_e64 v51, v51, 1.0                                // 000000007ABC: D1010033 0001E533
	v_add_f32_e64 v52, v52, 1.0                                // 000000007AC4: D1010034 0001E534
	v_add_f32_e64 v53, v53, 1.0                                // 000000007ACC: D1010035 0001E535
	v_rcp_f32_e32 v50, v50                                     // 000000007AD4: 7E644532
	v_rcp_f32_e32 v51, v51                                     // 000000007AD8: 7E664533
	v_rcp_f32_e32 v52, v52                                     // 000000007ADC: 7E684534
	v_rcp_f32_e32 v53, v53                                     // 000000007AE0: 7E6A4535
	v_mul_f32_e32 v136, v136, v50                              // 000000007AE4: 0B106588
	v_mul_f32_e32 v137, v137, v51                              // 000000007AE8: 0B126789
	v_mul_f32_e32 v138, v138, v52                              // 000000007AEC: 0B14698A
	v_mul_f32_e32 v139, v139, v53                              // 000000007AF0: 0B166B8B
	v_mul_f32_e32 v136, v136, v72                              // 000000007AF4: 0B109188
	v_mul_f32_e32 v137, v137, v73                              // 000000007AF8: 0B129389
	v_mul_f32_e32 v138, v138, v74                              // 000000007AFC: 0B14958A
	v_mul_f32_e32 v139, v139, v75                              // 000000007B00: 0B16978B
	buffer_load_dwordx4 a[24:27], v41, s[12:15], 0 offen       // 000000007B04: E05C1000 80831829
	v_mul_f32_e64 v50, -v140, s6                               // 000000007B0C: D1050032 20000D8C
	v_mul_f32_e64 v51, -v141, s6                               // 000000007B14: D1050033 20000D8D
	v_mul_f32_e64 v52, -v142, s6                               // 000000007B1C: D1050034 20000D8E
	v_mul_f32_e64 v53, -v143, s6                               // 000000007B24: D1050035 20000D8F
	v_exp_f32_e32 v50, v50                                     // 000000007B2C: 7E644132
	v_exp_f32_e32 v51, v51                                     // 000000007B30: 7E664133
	v_exp_f32_e32 v52, v52                                     // 000000007B34: 7E684134
	v_exp_f32_e32 v53, v53                                     // 000000007B38: 7E6A4135
	buffer_load_dwordx4 a[28:31], v42, s[12:15], 0 offen       // 000000007B3C: E05C1000 80831C2A
	s_add_u32 s12, s78, s12                                    // 000000007B44: 800C0C4E
	s_addc_u32 s13, 0, s13                                     // 000000007B48: 820D0D80
	v_add_f32_e64 v50, v50, 1.0                                // 000000007B4C: D1010032 0001E532
	v_add_f32_e64 v51, v51, 1.0                                // 000000007B54: D1010033 0001E533
	v_add_f32_e64 v52, v52, 1.0                                // 000000007B5C: D1010034 0001E534
	v_add_f32_e64 v53, v53, 1.0                                // 000000007B64: D1010035 0001E535
	v_rcp_f32_e32 v50, v50                                     // 000000007B6C: 7E644532
	v_rcp_f32_e32 v51, v51                                     // 000000007B70: 7E664533
	v_rcp_f32_e32 v52, v52                                     // 000000007B74: 7E684534
	v_rcp_f32_e32 v53, v53                                     // 000000007B78: 7E6A4535
	v_mul_f32_e32 v140, v140, v50                              // 000000007B7C: 0B18658C
	v_mul_f32_e32 v141, v141, v51                              // 000000007B80: 0B1A678D
	v_mul_f32_e32 v142, v142, v52                              // 000000007B84: 0B1C698E
	v_mul_f32_e32 v143, v143, v53                              // 000000007B88: 0B1E6B8F
	v_mul_f32_e32 v140, v140, v76                              // 000000007B8C: 0B18998C
	v_mul_f32_e32 v141, v141, v77                              // 000000007B90: 0B1A9B8D
	v_mul_f32_e32 v142, v142, v78                              // 000000007B94: 0B1C9D8E
	v_mul_f32_e32 v143, v143, v79                              // 000000007B98: 0B1E9F8F
	s_waitcnt vmcnt(16)                                        // 000000007B9C: BF8C4F70
	buffer_load_dwordx4 a[32:35], v39, s[12:15], 0 offen       // 000000007BA0: E05C1000 80832027
	v_mul_f32_e64 v50, -v144, s6                               // 000000007BA8: D1050032 20000D90
	v_mul_f32_e64 v51, -v145, s6                               // 000000007BB0: D1050033 20000D91
	v_mul_f32_e64 v52, -v146, s6                               // 000000007BB8: D1050034 20000D92
	v_mul_f32_e64 v53, -v147, s6                               // 000000007BC0: D1050035 20000D93
	v_exp_f32_e32 v50, v50                                     // 000000007BC8: 7E644132
	v_exp_f32_e32 v51, v51                                     // 000000007BCC: 7E664133
	v_exp_f32_e32 v52, v52                                     // 000000007BD0: 7E684134
	v_exp_f32_e32 v53, v53                                     // 000000007BD4: 7E6A4135
	buffer_load_dwordx4 a[36:39], v40, s[12:15], 0 offen       // 000000007BD8: E05C1000 80832428
	v_add_f32_e64 v50, v50, 1.0                                // 000000007BE0: D1010032 0001E532
	v_add_f32_e64 v51, v51, 1.0                                // 000000007BE8: D1010033 0001E533
	v_add_f32_e64 v52, v52, 1.0                                // 000000007BF0: D1010034 0001E534
	v_add_f32_e64 v53, v53, 1.0                                // 000000007BF8: D1010035 0001E535
	v_rcp_f32_e32 v50, v50                                     // 000000007C00: 7E644532
	v_rcp_f32_e32 v51, v51                                     // 000000007C04: 7E664533
	v_rcp_f32_e32 v52, v52                                     // 000000007C08: 7E684534
	v_rcp_f32_e32 v53, v53                                     // 000000007C0C: 7E6A4535
	v_mul_f32_e32 v144, v144, v50                              // 000000007C10: 0B206590
	v_mul_f32_e32 v145, v145, v51                              // 000000007C14: 0B226791
	v_mul_f32_e32 v146, v146, v52                              // 000000007C18: 0B246992
	v_mul_f32_e32 v147, v147, v53                              // 000000007C1C: 0B266B93
	v_mul_f32_e32 v144, v144, v80                              // 000000007C20: 0B20A190
	v_mul_f32_e32 v145, v145, v81                              // 000000007C24: 0B22A391
	v_mul_f32_e32 v146, v146, v82                              // 000000007C28: 0B24A592
	v_mul_f32_e32 v147, v147, v83                              // 000000007C2C: 0B26A793
	buffer_load_dwordx4 a[40:43], v41, s[12:15], 0 offen       // 000000007C30: E05C1000 80832829
	v_mul_f32_e64 v50, -v148, s6                               // 000000007C38: D1050032 20000D94
	v_mul_f32_e64 v51, -v149, s6                               // 000000007C40: D1050033 20000D95
	v_mul_f32_e64 v52, -v150, s6                               // 000000007C48: D1050034 20000D96
	v_mul_f32_e64 v53, -v151, s6                               // 000000007C50: D1050035 20000D97
	v_exp_f32_e32 v50, v50                                     // 000000007C58: 7E644132
	v_exp_f32_e32 v51, v51                                     // 000000007C5C: 7E664133
	v_exp_f32_e32 v52, v52                                     // 000000007C60: 7E684134
	v_exp_f32_e32 v53, v53                                     // 000000007C64: 7E6A4135
	buffer_load_dwordx4 a[44:47], v42, s[12:15], 0 offen       // 000000007C68: E05C1000 80832C2A
	s_add_u32 s12, s78, s12                                    // 000000007C70: 800C0C4E
	s_addc_u32 s13, 0, s13                                     // 000000007C74: 820D0D80
	v_add_f32_e64 v50, v50, 1.0                                // 000000007C78: D1010032 0001E532
	v_add_f32_e64 v51, v51, 1.0                                // 000000007C80: D1010033 0001E533
	v_add_f32_e64 v52, v52, 1.0                                // 000000007C88: D1010034 0001E534
	v_add_f32_e64 v53, v53, 1.0                                // 000000007C90: D1010035 0001E535
	v_rcp_f32_e32 v50, v50                                     // 000000007C98: 7E644532
	v_rcp_f32_e32 v51, v51                                     // 000000007C9C: 7E664533
	v_rcp_f32_e32 v52, v52                                     // 000000007CA0: 7E684534
	v_rcp_f32_e32 v53, v53                                     // 000000007CA4: 7E6A4535
	v_mul_f32_e32 v148, v148, v50                              // 000000007CA8: 0B286594
	v_mul_f32_e32 v149, v149, v51                              // 000000007CAC: 0B2A6795
	v_mul_f32_e32 v150, v150, v52                              // 000000007CB0: 0B2C6996
	v_mul_f32_e32 v151, v151, v53                              // 000000007CB4: 0B2E6B97
	v_mul_f32_e32 v148, v148, v84                              // 000000007CB8: 0B28A994
	v_mul_f32_e32 v149, v149, v85                              // 000000007CBC: 0B2AAB95
	v_mul_f32_e32 v150, v150, v86                              // 000000007CC0: 0B2CAD96
	v_mul_f32_e32 v151, v151, v87                              // 000000007CC4: 0B2EAF97
	s_waitcnt vmcnt(16)                                        // 000000007CC8: BF8C4F70
	buffer_load_dwordx4 a[48:51], v39, s[12:15], 0 offen       // 000000007CCC: E05C1000 80833027
	v_mul_f32_e64 v50, -v152, s6                               // 000000007CD4: D1050032 20000D98
	v_mul_f32_e64 v51, -v153, s6                               // 000000007CDC: D1050033 20000D99
	v_mul_f32_e64 v52, -v154, s6                               // 000000007CE4: D1050034 20000D9A
	v_mul_f32_e64 v53, -v155, s6                               // 000000007CEC: D1050035 20000D9B
	v_exp_f32_e32 v50, v50                                     // 000000007CF4: 7E644132
	v_exp_f32_e32 v51, v51                                     // 000000007CF8: 7E664133
	v_exp_f32_e32 v52, v52                                     // 000000007CFC: 7E684134
	v_exp_f32_e32 v53, v53                                     // 000000007D00: 7E6A4135
	buffer_load_dwordx4 a[52:55], v40, s[12:15], 0 offen       // 000000007D04: E05C1000 80833428
	v_add_f32_e64 v50, v50, 1.0                                // 000000007D0C: D1010032 0001E532
	v_add_f32_e64 v51, v51, 1.0                                // 000000007D14: D1010033 0001E533
	v_add_f32_e64 v52, v52, 1.0                                // 000000007D1C: D1010034 0001E534
	v_add_f32_e64 v53, v53, 1.0                                // 000000007D24: D1010035 0001E535
	v_rcp_f32_e32 v50, v50                                     // 000000007D2C: 7E644532
	v_rcp_f32_e32 v51, v51                                     // 000000007D30: 7E664533
	v_rcp_f32_e32 v52, v52                                     // 000000007D34: 7E684534
	v_rcp_f32_e32 v53, v53                                     // 000000007D38: 7E6A4535
	v_mul_f32_e32 v152, v152, v50                              // 000000007D3C: 0B306598
	v_mul_f32_e32 v153, v153, v51                              // 000000007D40: 0B326799
	v_mul_f32_e32 v154, v154, v52                              // 000000007D44: 0B34699A
	v_mul_f32_e32 v155, v155, v53                              // 000000007D48: 0B366B9B
	v_mul_f32_e32 v152, v152, v88                              // 000000007D4C: 0B30B198
	v_mul_f32_e32 v153, v153, v89                              // 000000007D50: 0B32B399
	v_mul_f32_e32 v154, v154, v90                              // 000000007D54: 0B34B59A
	v_mul_f32_e32 v155, v155, v91                              // 000000007D58: 0B36B79B
	buffer_load_dwordx4 a[56:59], v41, s[12:15], 0 offen       // 000000007D5C: E05C1000 80833829
	v_mul_f32_e64 v50, -v156, s6                               // 000000007D64: D1050032 20000D9C
	v_mul_f32_e64 v51, -v157, s6                               // 000000007D6C: D1050033 20000D9D
	v_mul_f32_e64 v52, -v158, s6                               // 000000007D74: D1050034 20000D9E
	v_mul_f32_e64 v53, -v159, s6                               // 000000007D7C: D1050035 20000D9F
	v_exp_f32_e32 v50, v50                                     // 000000007D84: 7E644132
	v_exp_f32_e32 v51, v51                                     // 000000007D88: 7E664133
	v_exp_f32_e32 v52, v52                                     // 000000007D8C: 7E684134
	v_exp_f32_e32 v53, v53                                     // 000000007D90: 7E6A4135
	buffer_load_dwordx4 a[60:63], v42, s[12:15], 0 offen       // 000000007D94: E05C1000 80833C2A
	s_add_u32 s12, s78, s12                                    // 000000007D9C: 800C0C4E
	s_addc_u32 s13, 0, s13                                     // 000000007DA0: 820D0D80
	v_add_f32_e64 v50, v50, 1.0                                // 000000007DA4: D1010032 0001E532
	v_add_f32_e64 v51, v51, 1.0                                // 000000007DAC: D1010033 0001E533
	v_add_f32_e64 v52, v52, 1.0                                // 000000007DB4: D1010034 0001E534
	v_add_f32_e64 v53, v53, 1.0                                // 000000007DBC: D1010035 0001E535
	v_rcp_f32_e32 v50, v50                                     // 000000007DC4: 7E644532
	v_rcp_f32_e32 v51, v51                                     // 000000007DC8: 7E664533
	v_rcp_f32_e32 v52, v52                                     // 000000007DCC: 7E684534
	v_rcp_f32_e32 v53, v53                                     // 000000007DD0: 7E6A4535
	v_mul_f32_e32 v156, v156, v50                              // 000000007DD4: 0B38659C
	v_mul_f32_e32 v157, v157, v51                              // 000000007DD8: 0B3A679D
	v_mul_f32_e32 v158, v158, v52                              // 000000007DDC: 0B3C699E
	v_mul_f32_e32 v159, v159, v53                              // 000000007DE0: 0B3E6B9F
	v_mul_f32_e32 v156, v156, v92                              // 000000007DE4: 0B38B99C
	v_mul_f32_e32 v157, v157, v93                              // 000000007DE8: 0B3ABB9D
	v_mul_f32_e32 v158, v158, v94                              // 000000007DEC: 0B3CBD9E
	v_mul_f32_e32 v159, v159, v95                              // 000000007DF0: 0B3EBF9F
	s_waitcnt vmcnt(16)                                        // 000000007DF4: BF8C4F70
	buffer_load_dwordx4 a[64:67], v39, s[12:15], 0 offen       // 000000007DF8: E05C1000 80834027
	v_mul_f32_e64 v50, -v160, s6                               // 000000007E00: D1050032 20000DA0
	v_mul_f32_e64 v51, -v161, s6                               // 000000007E08: D1050033 20000DA1
	v_mul_f32_e64 v52, -v162, s6                               // 000000007E10: D1050034 20000DA2
	v_mul_f32_e64 v53, -v163, s6                               // 000000007E18: D1050035 20000DA3
	v_exp_f32_e32 v50, v50                                     // 000000007E20: 7E644132
	v_exp_f32_e32 v51, v51                                     // 000000007E24: 7E664133
	v_exp_f32_e32 v52, v52                                     // 000000007E28: 7E684134
	v_exp_f32_e32 v53, v53                                     // 000000007E2C: 7E6A4135
	buffer_load_dwordx4 a[68:71], v40, s[12:15], 0 offen       // 000000007E30: E05C1000 80834428
	v_add_f32_e64 v50, v50, 1.0                                // 000000007E38: D1010032 0001E532
	v_add_f32_e64 v51, v51, 1.0                                // 000000007E40: D1010033 0001E533
	v_add_f32_e64 v52, v52, 1.0                                // 000000007E48: D1010034 0001E534
	v_add_f32_e64 v53, v53, 1.0                                // 000000007E50: D1010035 0001E535
	v_rcp_f32_e32 v50, v50                                     // 000000007E58: 7E644532
	v_rcp_f32_e32 v51, v51                                     // 000000007E5C: 7E664533
	v_rcp_f32_e32 v52, v52                                     // 000000007E60: 7E684534
	v_rcp_f32_e32 v53, v53                                     // 000000007E64: 7E6A4535
	v_mul_f32_e32 v160, v160, v50                              // 000000007E68: 0B4065A0
	v_mul_f32_e32 v161, v161, v51                              // 000000007E6C: 0B4267A1
	v_mul_f32_e32 v162, v162, v52                              // 000000007E70: 0B4469A2
	v_mul_f32_e32 v163, v163, v53                              // 000000007E74: 0B466BA3
	v_mul_f32_e32 v160, v160, v96                              // 000000007E78: 0B40C1A0
	v_mul_f32_e32 v161, v161, v97                              // 000000007E7C: 0B42C3A1
	v_mul_f32_e32 v162, v162, v98                              // 000000007E80: 0B44C5A2
	v_mul_f32_e32 v163, v163, v99                              // 000000007E84: 0B46C7A3
	buffer_load_dwordx4 a[72:75], v41, s[12:15], 0 offen       // 000000007E88: E05C1000 80834829
	v_mul_f32_e64 v50, -v164, s6                               // 000000007E90: D1050032 20000DA4
	v_mul_f32_e64 v51, -v165, s6                               // 000000007E98: D1050033 20000DA5
	v_mul_f32_e64 v52, -v166, s6                               // 000000007EA0: D1050034 20000DA6
	v_mul_f32_e64 v53, -v167, s6                               // 000000007EA8: D1050035 20000DA7
	v_exp_f32_e32 v50, v50                                     // 000000007EB0: 7E644132
	v_exp_f32_e32 v51, v51                                     // 000000007EB4: 7E664133
	v_exp_f32_e32 v52, v52                                     // 000000007EB8: 7E684134
	v_exp_f32_e32 v53, v53                                     // 000000007EBC: 7E6A4135
	buffer_load_dwordx4 a[76:79], v42, s[12:15], 0 offen       // 000000007EC0: E05C1000 80834C2A
	v_add_f32_e64 v50, v50, 1.0                                // 000000007EC8: D1010032 0001E532
	v_add_f32_e64 v51, v51, 1.0                                // 000000007ED0: D1010033 0001E533
	v_add_f32_e64 v52, v52, 1.0                                // 000000007ED8: D1010034 0001E534
	v_add_f32_e64 v53, v53, 1.0                                // 000000007EE0: D1010035 0001E535
	v_rcp_f32_e32 v50, v50                                     // 000000007EE8: 7E644532
	v_rcp_f32_e32 v51, v51                                     // 000000007EEC: 7E664533
	v_rcp_f32_e32 v52, v52                                     // 000000007EF0: 7E684534
	v_rcp_f32_e32 v53, v53                                     // 000000007EF4: 7E6A4535
	v_mul_f32_e32 v164, v164, v50                              // 000000007EF8: 0B4865A4
	v_mul_f32_e32 v165, v165, v51                              // 000000007EFC: 0B4A67A5
	v_mul_f32_e32 v166, v166, v52                              // 000000007F00: 0B4C69A6
	v_mul_f32_e32 v167, v167, v53                              // 000000007F04: 0B4E6BA7
	v_mul_f32_e32 v164, v164, v100                             // 000000007F08: 0B48C9A4
	v_mul_f32_e32 v165, v165, v101                             // 000000007F0C: 0B4ACBA5
	v_mul_f32_e32 v166, v166, v102                             // 000000007F10: 0B4CCDA6
	v_mul_f32_e32 v167, v167, v103                             // 000000007F14: 0B4ECFA7
	v_lshlrev_b32_e32 v50, 2, v0                               // 000000007F18: 24640082
	s_mul_i32 s60, s82, s71                                    // 000000007F1C: 923C4752
	v_add_u32_e64 v80, v50, s60                                // 000000007F20: D1340050 00007932
	v_mov_b32_e32 v81, 0                                       // 000000007F28: 7EA20280
	s_mul_i32 s60, s83, s71                                    // 000000007F2C: 923C4753
	v_add_u32_e64 v82, v50, s60                                // 000000007F30: D1340052 00007932
	v_mov_b32_e32 v83, 0                                       // 000000007F38: 7EA60280
	s_mul_i32 s60, s84, s71                                    // 000000007F3C: 923C4754
	v_add_u32_e64 v84, v50, s60                                // 000000007F40: D1340054 00007932
	v_mov_b32_e32 v85, 0                                       // 000000007F48: 7EAA0280
	s_mul_i32 s60, s85, s71                                    // 000000007F4C: 923C4755
	v_add_u32_e64 v86, v50, s60                                // 000000007F50: D1340056 00007932
	v_mov_b32_e32 v87, 0                                       // 000000007F58: 7EAE0280
	s_mul_i32 s60, s86, s71                                    // 000000007F5C: 923C4756
	v_add_u32_e64 v88, v50, s60                                // 000000007F60: D1340058 00007932
	v_mov_b32_e32 v89, 0                                       // 000000007F68: 7EB20280
	s_mul_i32 s60, s87, s71                                    // 000000007F6C: 923C4757
	v_add_u32_e64 v90, v50, s60                                // 000000007F70: D134005A 00007932
	v_mov_b32_e32 v91, 0                                       // 000000007F78: 7EB60280
	s_mul_i32 s60, s88, s71                                    // 000000007F7C: 923C4758
	v_add_u32_e64 v92, v50, s60                                // 000000007F80: D134005C 00007932
	v_mov_b32_e32 v93, 0                                       // 000000007F88: 7EBA0280
	s_mul_i32 s60, s89, s71                                    // 000000007F8C: 923C4759
	v_add_u32_e64 v94, v50, s60                                // 000000007F90: D134005E 00007932
	v_mov_b32_e32 v95, 0                                       // 000000007F98: 7EBE0280
	buffer_load_dword v12, v5, s[16:19], 0 offen               // 000000007F9C: E0501000 80040C05
	v_mov_b32_e32 v22, 0x358637bd                              // 000000007FA4: 7E2C02FF 358637BD
	v_mov_b32_e32 v23, 0x358637bd                              // 000000007FAC: 7E2E02FF 358637BD
	v_max3_f32 v22, |v128|, |v129|, v22                        // 000000007FB4: D1D30316 045B0380
	v_max3_f32 v22, |v130|, |v131|, v22                        // 000000007FBC: D1D30316 045B0782
	v_max3_f32 v23, |v132|, |v133|, v23                        // 000000007FC4: D1D30317 045F0B84
	v_max3_f32 v23, |v134|, |v135|, v23                        // 000000007FCC: D1D30317 045F0F86
	v_max3_f32 v22, |v136|, |v137|, v22                        // 000000007FD4: D1D30316 045B1388
	v_max3_f32 v22, |v138|, |v139|, v22                        // 000000007FDC: D1D30316 045B178A
	v_max3_f32 v23, |v140|, |v141|, v23                        // 000000007FE4: D1D30317 045F1B8C
	v_max3_f32 v23, |v142|, |v143|, v23                        // 000000007FEC: D1D30317 045F1F8E
	v_max3_f32 v22, |v144|, |v145|, v22                        // 000000007FF4: D1D30316 045B2390
	v_max3_f32 v22, |v146|, |v147|, v22                        // 000000007FFC: D1D30316 045B2792
	v_max3_f32 v23, |v148|, |v149|, v23                        // 000000008004: D1D30317 045F2B94
	v_max3_f32 v23, |v150|, |v151|, v23                        // 00000000800C: D1D30317 045F2F96
	v_max3_f32 v22, |v152|, |v153|, v22                        // 000000008014: D1D30316 045B3398
	v_max3_f32 v22, |v154|, |v155|, v22                        // 00000000801C: D1D30316 045B379A
	v_max3_f32 v23, |v156|, |v157|, v23                        // 000000008024: D1D30317 045F3B9C
	v_max3_f32 v23, |v158|, |v159|, v23                        // 00000000802C: D1D30317 045F3F9E
	v_max3_f32 v22, |v160|, |v161|, v22                        // 000000008034: D1D30316 045B43A0
	v_max3_f32 v22, |v162|, |v163|, v22                        // 00000000803C: D1D30316 045B47A2
	v_max3_f32 v23, |v164|, |v165|, v23                        // 000000008044: D1D30317 045F4BA4
	v_max3_f32 v23, |v166|, |v167|, v23                        // 00000000804C: D1D30317 045F4FA6
	v_lshlrev_b32_e32 v50, 3, v0                               // 000000008054: 24640083
	s_mul_i32 s60, 0x200, s7                                   // 000000008058: 923C07FF 00000200
	v_add_u32_e32 v50, s60, v50                                // 000000008060: 6864643C
	ds_write_b64 v50, v[22:23] offset:16640                    // 000000008064: D89A4100 00001632
	s_waitcnt lgkmcnt(0)                                       // 00000000806C: BF8CC07F
	s_barrier                                                  // 000000008070: BF8A0000
	v_and_b32_e32 v50, 15, v0                                  // 000000008074: 2664008F
	v_lshlrev_b32_e32 v50, 3, v50                              // 000000008078: 24646483
	ds_read_b64 v[96:97], v50 offset:16640                     // 00000000807C: D8EC4100 60000032
	ds_read_b64 v[98:99], v50 offset:16768                     // 000000008084: D8EC4180 62000032
	ds_read_b64 v[100:101], v50 offset:16896                   // 00000000808C: D8EC4200 64000032
	ds_read_b64 v[102:103], v50 offset:17024                   // 000000008094: D8EC4280 66000032
	ds_read_b64 v[104:105], v50 offset:17152                   // 00000000809C: D8EC4300 68000032
	ds_read_b64 v[106:107], v50 offset:17280                   // 0000000080A4: D8EC4380 6A000032
	ds_read_b64 v[108:109], v50 offset:17408                   // 0000000080AC: D8EC4400 6C000032
	ds_read_b64 v[110:111], v50 offset:17536                   // 0000000080B4: D8EC4480 6E000032
	ds_read_b64 v[112:113], v50 offset:17664                   // 0000000080BC: D8EC4500 70000032
	ds_read_b64 v[114:115], v50 offset:17792                   // 0000000080C4: D8EC4580 72000032
	ds_read_b64 v[116:117], v50 offset:17920                   // 0000000080CC: D8EC4600 74000032
	ds_read_b64 v[118:119], v50 offset:18048                   // 0000000080D4: D8EC4680 76000032
	ds_read_b64 v[120:121], v50 offset:18176                   // 0000000080DC: D8EC4700 78000032
	ds_read_b64 v[122:123], v50 offset:18304                   // 0000000080E4: D8EC4780 7A000032
	ds_read_b64 v[124:125], v50 offset:18432                   // 0000000080EC: D8EC4800 7C000032
	ds_read_b64 v[126:127], v50 offset:18560                   // 0000000080F4: D8EC4880 7E000032
	s_waitcnt lgkmcnt(0)                                       // 0000000080FC: BF8CC07F
	v_max3_f32 v22, |v96|, |v98|, v22                          // 000000008100: D1D30316 045AC560
	v_max3_f32 v23, |v97|, |v99|, v23                          // 000000008108: D1D30317 045EC761
	v_max3_f32 v22, |v100|, |v102|, v22                        // 000000008110: D1D30316 045ACD64
	v_max3_f32 v23, |v101|, |v103|, v23                        // 000000008118: D1D30317 045ECF65
	v_max3_f32 v22, |v104|, |v106|, v22                        // 000000008120: D1D30316 045AD568
	v_max3_f32 v23, |v105|, |v107|, v23                        // 000000008128: D1D30317 045ED769
	v_max3_f32 v22, |v108|, |v110|, v22                        // 000000008130: D1D30316 045ADD6C
	v_max3_f32 v23, |v109|, |v111|, v23                        // 000000008138: D1D30317 045EDF6D
	v_max3_f32 v22, |v112|, |v114|, v22                        // 000000008140: D1D30316 045AE570
	v_max3_f32 v23, |v113|, |v115|, v23                        // 000000008148: D1D30317 045EE771
	v_max3_f32 v22, |v116|, |v118|, v22                        // 000000008150: D1D30316 045AED74
	v_max3_f32 v23, |v117|, |v119|, v23                        // 000000008158: D1D30317 045EEF75
	v_max3_f32 v22, |v120|, |v122|, v22                        // 000000008160: D1D30316 045AF578
	v_max3_f32 v23, |v121|, |v123|, v23                        // 000000008168: D1D30317 045EF779
	v_max3_f32 v22, |v124|, |v126|, v22                        // 000000008170: D1D30316 045AFD7C
	v_max3_f32 v23, |v125|, |v127|, v23                        // 000000008178: D1D30317 045EFF7D
	v_rcp_f32_e32 v22, v22                                     // 000000008180: 7E2C4516
	v_rcp_f32_e32 v23, v23                                     // 000000008184: 7E2E4517
	v_mov_b32_e32 v50, 0x43e00000                              // 000000008188: 7E6402FF 43E00000
	v_mul_f32_e32 v22, v50, v22                                // 000000008190: 0A2C2D32
	v_mul_f32_e32 v23, v50, v23                                // 000000008194: 0A2E2F32
	v_mul_f32_e32 v128, v22, v128                              // 000000008198: 0B010116
	v_mul_f32_e32 v129, v22, v129                              // 00000000819C: 0B030316
	v_mul_f32_e32 v130, v22, v130                              // 0000000081A0: 0B050516
	v_mul_f32_e32 v131, v22, v131                              // 0000000081A4: 0B070716
	v_cvt_pk_fp8_f32 v128, v128, v129                          // 0000000081A8: D2A20080 00030380
	v_cvt_pk_fp8_f32 v128, v130, v131 op_sel:[0,0,1]           // 0000000081B0: D2A24080 00030782
	v_mul_f32_e32 v132, v23, v132                              // 0000000081B8: 0B090917
	v_mul_f32_e32 v133, v23, v133                              // 0000000081BC: 0B0B0B17
	v_mul_f32_e32 v134, v23, v134                              // 0000000081C0: 0B0D0D17
	v_mul_f32_e32 v135, v23, v135                              // 0000000081C4: 0B0F0F17
	v_cvt_pk_fp8_f32 v129, v132, v133                          // 0000000081C8: D2A20081 00030B84
	v_cvt_pk_fp8_f32 v129, v134, v135 op_sel:[0,0,1]           // 0000000081D0: D2A24081 00030F86
	v_mul_f32_e32 v136, v22, v136                              // 0000000081D8: 0B111116
	v_mul_f32_e32 v137, v22, v137                              // 0000000081DC: 0B131316
	v_mul_f32_e32 v138, v22, v138                              // 0000000081E0: 0B151516
	v_mul_f32_e32 v139, v22, v139                              // 0000000081E4: 0B171716
	v_cvt_pk_fp8_f32 v130, v136, v137                          // 0000000081E8: D2A20082 00031388
	v_cvt_pk_fp8_f32 v130, v138, v139 op_sel:[0,0,1]           // 0000000081F0: D2A24082 0003178A
	v_mul_f32_e32 v140, v23, v140                              // 0000000081F8: 0B191917
	v_mul_f32_e32 v141, v23, v141                              // 0000000081FC: 0B1B1B17
	v_mul_f32_e32 v142, v23, v142                              // 000000008200: 0B1D1D17
	v_mul_f32_e32 v143, v23, v143                              // 000000008204: 0B1F1F17
	v_cvt_pk_fp8_f32 v131, v140, v141                          // 000000008208: D2A20083 00031B8C
	v_cvt_pk_fp8_f32 v131, v142, v143 op_sel:[0,0,1]           // 000000008210: D2A24083 00031F8E
	v_mul_f32_e32 v144, v22, v144                              // 000000008218: 0B212116
	v_mul_f32_e32 v145, v22, v145                              // 00000000821C: 0B232316
	v_mul_f32_e32 v146, v22, v146                              // 000000008220: 0B252516
	v_mul_f32_e32 v147, v22, v147                              // 000000008224: 0B272716
	v_cvt_pk_fp8_f32 v132, v144, v145                          // 000000008228: D2A20084 00032390
	v_cvt_pk_fp8_f32 v132, v146, v147 op_sel:[0,0,1]           // 000000008230: D2A24084 00032792
	v_mul_f32_e32 v148, v23, v148                              // 000000008238: 0B292917
	v_mul_f32_e32 v149, v23, v149                              // 00000000823C: 0B2B2B17
	v_mul_f32_e32 v150, v23, v150                              // 000000008240: 0B2D2D17
	v_mul_f32_e32 v151, v23, v151                              // 000000008244: 0B2F2F17
	v_cvt_pk_fp8_f32 v133, v148, v149                          // 000000008248: D2A20085 00032B94
	v_cvt_pk_fp8_f32 v133, v150, v151 op_sel:[0,0,1]           // 000000008250: D2A24085 00032F96
	v_mul_f32_e32 v152, v22, v152                              // 000000008258: 0B313116
	v_mul_f32_e32 v153, v22, v153                              // 00000000825C: 0B333316
	v_mul_f32_e32 v154, v22, v154                              // 000000008260: 0B353516
	v_mul_f32_e32 v155, v22, v155                              // 000000008264: 0B373716
	v_cvt_pk_fp8_f32 v134, v152, v153                          // 000000008268: D2A20086 00033398
	v_cvt_pk_fp8_f32 v134, v154, v155 op_sel:[0,0,1]           // 000000008270: D2A24086 0003379A
	v_mul_f32_e32 v156, v23, v156                              // 000000008278: 0B393917
	v_mul_f32_e32 v157, v23, v157                              // 00000000827C: 0B3B3B17
	v_mul_f32_e32 v158, v23, v158                              // 000000008280: 0B3D3D17
	v_mul_f32_e32 v159, v23, v159                              // 000000008284: 0B3F3F17
	v_cvt_pk_fp8_f32 v135, v156, v157                          // 000000008288: D2A20087 00033B9C
	v_cvt_pk_fp8_f32 v135, v158, v159 op_sel:[0,0,1]           // 000000008290: D2A24087 00033F9E
	v_mul_f32_e32 v160, v22, v160                              // 000000008298: 0B414116
	v_mul_f32_e32 v161, v22, v161                              // 00000000829C: 0B434316
	v_mul_f32_e32 v162, v22, v162                              // 0000000082A0: 0B454516
	v_mul_f32_e32 v163, v22, v163                              // 0000000082A4: 0B474716
	v_cvt_pk_fp8_f32 v136, v160, v161                          // 0000000082A8: D2A20088 000343A0
	v_cvt_pk_fp8_f32 v136, v162, v163 op_sel:[0,0,1]           // 0000000082B0: D2A24088 000347A2
	v_mul_f32_e32 v164, v23, v164                              // 0000000082B8: 0B494917
	v_mul_f32_e32 v165, v23, v165                              // 0000000082BC: 0B4B4B17
	v_mul_f32_e32 v166, v23, v166                              // 0000000082C0: 0B4D4D17
	v_mul_f32_e32 v167, v23, v167                              // 0000000082C4: 0B4F4F17
	v_cvt_pk_fp8_f32 v137, v164, v165                          // 0000000082C8: D2A20089 00034BA4
	v_cvt_pk_fp8_f32 v137, v166, v167 op_sel:[0,0,1]           // 0000000082D0: D2A24089 00034FA6
	v_rcp_f32_e32 v24, v22                                     // 0000000082D8: 7E304516
	v_rcp_f32_e32 v25, v23                                     // 0000000082DC: 7E324517
	v_lshrrev_b32_e32 v50, 5, v0                               // 0000000082E0: 20640085
	v_lshlrev_b32_e32 v51, 5, v50                              // 0000000082E4: 24666485
	v_and_b32_e32 v50, 31, v0                                  // 0000000082E8: 2664009F
	v_lshrrev_b32_e32 v52, 4, v50                              // 0000000082EC: 20686484
	v_add_u32_e32 v51, v52, v51                                // 0000000082F0: 68666734
	v_and_b32_e32 v50, 15, v0                                  // 0000000082F4: 2664008F
	v_lshlrev_b32_e32 v50, 1, v50                              // 0000000082F8: 24646481
	v_add_u32_e32 v51, v50, v51                                // 0000000082FC: 68666732
	v_lshlrev_b32_e32 v50, 2, v51                              // 000000008300: 24646682
	s_mul_i32 s60, 0x100, s7                                   // 000000008304: 923C07FF 00000100
	v_add_u32_e64 v50, v50, s60                                // 00000000830C: D1340032 00007932
	ds_write_b32 v50, v128 offset:18688                        // 000000008314: D81A4900 00008032
	ds_write_b32 v50, v129 offset:23808                        // 00000000831C: D81A5D00 00008132
	ds_write_b32 v50, v130 offset:19712                        // 000000008324: D81A4D00 00008232
	ds_write_b32 v50, v131 offset:24832                        // 00000000832C: D81A6100 00008332
	ds_write_b32 v50, v132 offset:20736                        // 000000008334: D81A5100 00008432
	ds_write_b32 v50, v133 offset:25856                        // 00000000833C: D81A6500 00008532
	ds_write_b32 v50, v134 offset:21760                        // 000000008344: D81A5500 00008632
	ds_write_b32 v50, v135 offset:26880                        // 00000000834C: D81A6900 00008732
	ds_write_b32 v50, v136 offset:22784                        // 000000008354: D81A5900 00008832
	ds_write_b32 v50, v137 offset:27904                        // 00000000835C: D81A6D00 00008932
	s_waitcnt lgkmcnt(0)                                       // 000000008364: BF8CC07F
	s_barrier                                                  // 000000008368: BF8A0000
	v_lshrrev_b32_e32 v50, 4, v0                               // 00000000836C: 20640084
	v_lshlrev_b32_e32 v51, 6, v50                              // 000000008370: 24666486
	v_and_b32_e32 v50, 15, v0                                  // 000000008374: 2664008F
	v_lshlrev_b32_e32 v50, 1, v50                              // 000000008378: 24646481
	v_add_u32_e32 v51, v50, v51                                // 00000000837C: 68666732
	v_lshlrev_b32_e32 v50, 2, v51                              // 000000008380: 24646682
	ds_read_b64 v[128:129], v50 offset:18688                   // 000000008384: D8EC4900 80000032
	ds_read_b64 v[130:131], v50 offset:18816                   // 00000000838C: D8EC4980 82000032
	ds_read_b64 v[132:133], v50 offset:19712                   // 000000008394: D8EC4D00 84000032
	ds_read_b64 v[134:135], v50 offset:19840                   // 00000000839C: D8EC4D80 86000032
	ds_read_b64 v[136:137], v50 offset:20736                   // 0000000083A4: D8EC5100 88000032
	ds_read_b64 v[138:139], v50 offset:20864                   // 0000000083AC: D8EC5180 8A000032
	ds_read_b64 v[140:141], v50 offset:21760                   // 0000000083B4: D8EC5500 8C000032
	ds_read_b64 v[142:143], v50 offset:21888                   // 0000000083BC: D8EC5580 8E000032
	ds_read_b64 v[144:145], v50 offset:22784                   // 0000000083C4: D8EC5900 90000032
	ds_read_b64 v[146:147], v50 offset:22912                   // 0000000083CC: D8EC5980 92000032
	ds_read_b64 v[148:149], v50 offset:23808                   // 0000000083D4: D8EC5D00 94000032
	ds_read_b64 v[150:151], v50 offset:23936                   // 0000000083DC: D8EC5D80 96000032
	ds_read_b64 v[152:153], v50 offset:24832                   // 0000000083E4: D8EC6100 98000032
	ds_read_b64 v[154:155], v50 offset:24960                   // 0000000083EC: D8EC6180 9A000032
	ds_read_b64 v[156:157], v50 offset:25856                   // 0000000083F4: D8EC6500 9C000032
	ds_read_b64 v[158:159], v50 offset:25984                   // 0000000083FC: D8EC6580 9E000032
	ds_read_b64 v[160:161], v50 offset:26880                   // 000000008404: D8EC6900 A0000032
	ds_read_b64 v[162:163], v50 offset:27008                   // 00000000840C: D8EC6980 A2000032
	ds_read_b64 v[164:165], v50 offset:27904                   // 000000008414: D8EC6D00 A4000032
	ds_read_b64 v[166:167], v50 offset:28032                   // 00000000841C: D8EC6D80 A6000032
	s_add_u32 s12, s56, s12                                    // 000000008424: 800C0C38
	s_addc_u32 s13, 0, s13                                     // 000000008428: 820D0D80
	s_add_u32 s16, s79, s16                                    // 00000000842C: 8010104F
	s_addc_u32 s17, 0, s17                                     // 000000008430: 82111180
	s_mov_b32 s80, 0                                           // 000000008434: BED00080
	s_waitcnt vmcnt(0) expcnt(0) lgkmcnt(0)                    // 000000008438: BF8C0000

000000000000843c <label_158F>:
	s_waitcnt vmcnt(33)                                        // 00000000843C: BF8C8F71
	s_barrier                                                  // 000000008440: BF8A0000
	v_mfma_f32_16x16x32_fp8_fp8 v[168:171], a[0:1], v[128:129], 0// 000000008444: D3F300A8 0A030100
	buffer_load_dwordx4 a[80:83], v39, s[12:15], 0 offen       // 00000000844C: E05C1000 80835027
	v_mfma_f32_16x16x32_fp8_fp8 v[168:171], a[2:3], v[130:131], v[168:171]// 000000008454: D3F300A8 0EA30502
	v_mfma_f32_16x16x32_fp8_fp8 v[172:175], a[0:1], v[148:149], 0// 00000000845C: D3F300AC 0A032900
	v_mfma_f32_16x16x32_fp8_fp8 v[172:175], a[2:3], v[150:151], v[172:175]// 000000008464: D3F300AC 0EB32D02
	v_mfma_f32_16x16x32_fp8_fp8 v[176:179], a[4:5], v[128:129], 0// 00000000846C: D3F300B0 0A030104
	buffer_load_dwordx4 a[84:87], v40, s[12:15], 0 offen       // 000000008474: E05C1000 80835428
	v_mfma_f32_16x16x32_fp8_fp8 v[176:179], a[6:7], v[130:131], v[176:179]// 00000000847C: D3F300B0 0EC30506
	v_mfma_f32_16x16x32_fp8_fp8 v[180:183], a[4:5], v[148:149], 0// 000000008484: D3F300B4 0A032904
	v_mfma_f32_16x16x32_fp8_fp8 v[180:183], a[6:7], v[150:151], v[180:183]// 00000000848C: D3F300B4 0ED32D06
	v_mfma_f32_16x16x32_fp8_fp8 v[184:187], a[8:9], v[128:129], 0// 000000008494: D3F300B8 0A030108
	buffer_load_dwordx4 a[88:91], v41, s[12:15], 0 offen       // 00000000849C: E05C1000 80835829
	v_mfma_f32_16x16x32_fp8_fp8 v[184:187], a[10:11], v[130:131], v[184:187]// 0000000084A4: D3F300B8 0EE3050A
	v_mfma_f32_16x16x32_fp8_fp8 v[188:191], a[8:9], v[148:149], 0// 0000000084AC: D3F300BC 0A032908
	v_mfma_f32_16x16x32_fp8_fp8 v[188:191], a[10:11], v[150:151], v[188:191]// 0000000084B4: D3F300BC 0EF32D0A
	v_mfma_f32_16x16x32_fp8_fp8 v[192:195], a[12:13], v[128:129], 0// 0000000084BC: D3F300C0 0A03010C
	buffer_load_dwordx4 a[92:95], v42, s[12:15], 0 offen       // 0000000084C4: E05C1000 80835C2A
	s_add_u32 s12, s78, s12                                    // 0000000084CC: 800C0C4E
	s_addc_u32 s13, 0, s13                                     // 0000000084D0: 820D0D80
	v_mfma_f32_16x16x32_fp8_fp8 v[192:195], a[14:15], v[130:131], v[192:195]// 0000000084D4: D3F300C0 0F03050E
	v_mfma_f32_16x16x32_fp8_fp8 v[196:199], a[12:13], v[148:149], 0// 0000000084DC: D3F300C4 0A03290C
	v_mfma_f32_16x16x32_fp8_fp8 v[196:199], a[14:15], v[150:151], v[196:199]// 0000000084E4: D3F300C4 0F132D0E
	s_waitcnt vmcnt(33)                                        // 0000000084EC: BF8C8F71
	v_mfma_f32_16x16x32_fp8_fp8 v[168:171], a[16:17], v[132:133], v[168:171]// 0000000084F0: D3F300A8 0EA30910
	buffer_load_dwordx4 a[96:99], v39, s[12:15], 0 offen       // 0000000084F8: E05C1000 80836027
	v_mfma_f32_16x16x32_fp8_fp8 v[168:171], a[18:19], v[134:135], v[168:171]// 000000008500: D3F300A8 0EA30D12
	v_mfma_f32_16x16x32_fp8_fp8 v[172:175], a[16:17], v[152:153], v[172:175]// 000000008508: D3F300AC 0EB33110
	v_mfma_f32_16x16x32_fp8_fp8 v[172:175], a[18:19], v[154:155], v[172:175]// 000000008510: D3F300AC 0EB33512
	v_mfma_f32_16x16x32_fp8_fp8 v[176:179], a[20:21], v[132:133], v[176:179]// 000000008518: D3F300B0 0EC30914
	buffer_load_dwordx4 a[100:103], v40, s[12:15], 0 offen     // 000000008520: E05C1000 80836428
	v_mfma_f32_16x16x32_fp8_fp8 v[176:179], a[22:23], v[134:135], v[176:179]// 000000008528: D3F300B0 0EC30D16
	v_mfma_f32_16x16x32_fp8_fp8 v[180:183], a[20:21], v[152:153], v[180:183]// 000000008530: D3F300B4 0ED33114
	v_mfma_f32_16x16x32_fp8_fp8 v[180:183], a[22:23], v[154:155], v[180:183]// 000000008538: D3F300B4 0ED33516
	v_mfma_f32_16x16x32_fp8_fp8 v[184:187], a[24:25], v[132:133], v[184:187]// 000000008540: D3F300B8 0EE30918
	buffer_load_dwordx4 a[104:107], v41, s[12:15], 0 offen     // 000000008548: E05C1000 80836829
	v_mfma_f32_16x16x32_fp8_fp8 v[184:187], a[26:27], v[134:135], v[184:187]// 000000008550: D3F300B8 0EE30D1A
	v_mfma_f32_16x16x32_fp8_fp8 v[188:191], a[24:25], v[152:153], v[188:191]// 000000008558: D3F300BC 0EF33118
	v_mfma_f32_16x16x32_fp8_fp8 v[188:191], a[26:27], v[154:155], v[188:191]// 000000008560: D3F300BC 0EF3351A
	v_mfma_f32_16x16x32_fp8_fp8 v[192:195], a[28:29], v[132:133], v[192:195]// 000000008568: D3F300C0 0F03091C
	buffer_load_dwordx4 a[108:111], v42, s[12:15], 0 offen     // 000000008570: E05C1000 80836C2A
	s_add_u32 s12, s78, s12                                    // 000000008578: 800C0C4E
	s_addc_u32 s13, 0, s13                                     // 00000000857C: 820D0D80
	v_mfma_f32_16x16x32_fp8_fp8 v[192:195], a[30:31], v[134:135], v[192:195]// 000000008580: D3F300C0 0F030D1E
	v_mfma_f32_16x16x32_fp8_fp8 v[196:199], a[28:29], v[152:153], v[196:199]// 000000008588: D3F300C4 0F13311C
	v_mfma_f32_16x16x32_fp8_fp8 v[196:199], a[30:31], v[154:155], v[196:199]// 000000008590: D3F300C4 0F13351E
	s_waitcnt vmcnt(33)                                        // 000000008598: BF8C8F71
	v_mfma_f32_16x16x32_fp8_fp8 v[168:171], a[32:33], v[136:137], v[168:171]// 00000000859C: D3F300A8 0EA31120
	buffer_load_dwordx4 a[112:115], v39, s[12:15], 0 offen     // 0000000085A4: E05C1000 80837027
	v_mfma_f32_16x16x32_fp8_fp8 v[168:171], a[34:35], v[138:139], v[168:171]// 0000000085AC: D3F300A8 0EA31522
	v_mfma_f32_16x16x32_fp8_fp8 v[172:175], a[32:33], v[156:157], v[172:175]// 0000000085B4: D3F300AC 0EB33920
	v_mfma_f32_16x16x32_fp8_fp8 v[172:175], a[34:35], v[158:159], v[172:175]// 0000000085BC: D3F300AC 0EB33D22
	v_mfma_f32_16x16x32_fp8_fp8 v[176:179], a[36:37], v[136:137], v[176:179]// 0000000085C4: D3F300B0 0EC31124
	buffer_load_dwordx4 a[116:119], v40, s[12:15], 0 offen     // 0000000085CC: E05C1000 80837428
	v_mfma_f32_16x16x32_fp8_fp8 v[176:179], a[38:39], v[138:139], v[176:179]// 0000000085D4: D3F300B0 0EC31526
	v_mfma_f32_16x16x32_fp8_fp8 v[180:183], a[36:37], v[156:157], v[180:183]// 0000000085DC: D3F300B4 0ED33924
	v_mfma_f32_16x16x32_fp8_fp8 v[180:183], a[38:39], v[158:159], v[180:183]// 0000000085E4: D3F300B4 0ED33D26
	v_mfma_f32_16x16x32_fp8_fp8 v[184:187], a[40:41], v[136:137], v[184:187]// 0000000085EC: D3F300B8 0EE31128
	buffer_load_dwordx4 a[120:123], v41, s[12:15], 0 offen     // 0000000085F4: E05C1000 80837829
	v_mfma_f32_16x16x32_fp8_fp8 v[184:187], a[42:43], v[138:139], v[184:187]// 0000000085FC: D3F300B8 0EE3152A
	v_mfma_f32_16x16x32_fp8_fp8 v[188:191], a[40:41], v[156:157], v[188:191]// 000000008604: D3F300BC 0EF33928
	v_mfma_f32_16x16x32_fp8_fp8 v[188:191], a[42:43], v[158:159], v[188:191]// 00000000860C: D3F300BC 0EF33D2A
	v_mfma_f32_16x16x32_fp8_fp8 v[192:195], a[44:45], v[136:137], v[192:195]// 000000008614: D3F300C0 0F03112C
	buffer_load_dwordx4 a[124:127], v42, s[12:15], 0 offen     // 00000000861C: E05C1000 80837C2A
	s_add_u32 s12, s78, s12                                    // 000000008624: 800C0C4E
	s_addc_u32 s13, 0, s13                                     // 000000008628: 820D0D80
	v_mfma_f32_16x16x32_fp8_fp8 v[192:195], a[46:47], v[138:139], v[192:195]// 00000000862C: D3F300C0 0F03152E
	v_mfma_f32_16x16x32_fp8_fp8 v[196:199], a[44:45], v[156:157], v[196:199]// 000000008634: D3F300C4 0F13392C
	v_mfma_f32_16x16x32_fp8_fp8 v[196:199], a[46:47], v[158:159], v[196:199]// 00000000863C: D3F300C4 0F133D2E
	s_waitcnt vmcnt(33)                                        // 000000008644: BF8C8F71
	v_mfma_f32_16x16x32_fp8_fp8 v[168:171], a[48:49], v[140:141], v[168:171]// 000000008648: D3F300A8 0EA31930
	buffer_load_dwordx4 a[128:131], v39, s[12:15], 0 offen     // 000000008650: E05C1000 80838027
	v_mfma_f32_16x16x32_fp8_fp8 v[168:171], a[50:51], v[142:143], v[168:171]// 000000008658: D3F300A8 0EA31D32
	v_mfma_f32_16x16x32_fp8_fp8 v[172:175], a[48:49], v[160:161], v[172:175]// 000000008660: D3F300AC 0EB34130
	v_mfma_f32_16x16x32_fp8_fp8 v[172:175], a[50:51], v[162:163], v[172:175]// 000000008668: D3F300AC 0EB34532
	v_mfma_f32_16x16x32_fp8_fp8 v[176:179], a[52:53], v[140:141], v[176:179]// 000000008670: D3F300B0 0EC31934
	buffer_load_dwordx4 a[132:135], v40, s[12:15], 0 offen     // 000000008678: E05C1000 80838428
	v_mfma_f32_16x16x32_fp8_fp8 v[176:179], a[54:55], v[142:143], v[176:179]// 000000008680: D3F300B0 0EC31D36
	v_mfma_f32_16x16x32_fp8_fp8 v[180:183], a[52:53], v[160:161], v[180:183]// 000000008688: D3F300B4 0ED34134
	v_mfma_f32_16x16x32_fp8_fp8 v[180:183], a[54:55], v[162:163], v[180:183]// 000000008690: D3F300B4 0ED34536
	v_mfma_f32_16x16x32_fp8_fp8 v[184:187], a[56:57], v[140:141], v[184:187]// 000000008698: D3F300B8 0EE31938
	buffer_load_dwordx4 a[136:139], v41, s[12:15], 0 offen     // 0000000086A0: E05C1000 80838829
	v_mfma_f32_16x16x32_fp8_fp8 v[184:187], a[58:59], v[142:143], v[184:187]// 0000000086A8: D3F300B8 0EE31D3A
	v_mfma_f32_16x16x32_fp8_fp8 v[188:191], a[56:57], v[160:161], v[188:191]// 0000000086B0: D3F300BC 0EF34138
	v_mfma_f32_16x16x32_fp8_fp8 v[188:191], a[58:59], v[162:163], v[188:191]// 0000000086B8: D3F300BC 0EF3453A
	v_mfma_f32_16x16x32_fp8_fp8 v[192:195], a[60:61], v[140:141], v[192:195]// 0000000086C0: D3F300C0 0F03193C
	buffer_load_dwordx4 a[140:143], v42, s[12:15], 0 offen     // 0000000086C8: E05C1000 80838C2A
	s_add_u32 s12, s78, s12                                    // 0000000086D0: 800C0C4E
	s_addc_u32 s13, 0, s13                                     // 0000000086D4: 820D0D80
	v_mfma_f32_16x16x32_fp8_fp8 v[192:195], a[62:63], v[142:143], v[192:195]// 0000000086D8: D3F300C0 0F031D3E
	v_mfma_f32_16x16x32_fp8_fp8 v[196:199], a[60:61], v[160:161], v[196:199]// 0000000086E0: D3F300C4 0F13413C
	v_mfma_f32_16x16x32_fp8_fp8 v[196:199], a[62:63], v[162:163], v[196:199]// 0000000086E8: D3F300C4 0F13453E
	s_waitcnt vmcnt(32)                                        // 0000000086F0: BF8C8F70
	v_mfma_f32_16x16x32_fp8_fp8 v[168:171], a[64:65], v[144:145], v[168:171]// 0000000086F4: D3F300A8 0EA32140
	buffer_load_dwordx4 a[144:147], v39, s[12:15], 0 offen     // 0000000086FC: E05C1000 80839027
	v_mfma_f32_16x16x32_fp8_fp8 v[168:171], a[66:67], v[146:147], v[168:171]// 000000008704: D3F300A8 0EA32542
	v_mfma_f32_16x16x32_fp8_fp8 v[172:175], a[64:65], v[164:165], v[172:175]// 00000000870C: D3F300AC 0EB34940
	buffer_load_dword v13, v5, s[16:19], 0 offen               // 000000008714: E0501000 80040D05
	v_mfma_f32_16x16x32_fp8_fp8 v[172:175], a[66:67], v[166:167], v[172:175]// 00000000871C: D3F300AC 0EB34D42
	v_mfma_f32_16x16x32_fp8_fp8 v[176:179], a[68:69], v[144:145], v[176:179]// 000000008724: D3F300B0 0EC32144
	buffer_load_dwordx4 a[148:151], v40, s[12:15], 0 offen     // 00000000872C: E05C1000 80839428
	v_mfma_f32_16x16x32_fp8_fp8 v[176:179], a[70:71], v[146:147], v[176:179]// 000000008734: D3F300B0 0EC32546
	v_mfma_f32_16x16x32_fp8_fp8 v[180:183], a[68:69], v[164:165], v[180:183]// 00000000873C: D3F300B4 0ED34944
	v_mfma_f32_16x16x32_fp8_fp8 v[180:183], a[70:71], v[166:167], v[180:183]// 000000008744: D3F300B4 0ED34D46
	v_mfma_f32_16x16x32_fp8_fp8 v[184:187], a[72:73], v[144:145], v[184:187]// 00000000874C: D3F300B8 0EE32148
	buffer_load_dwordx4 a[152:155], v41, s[12:15], 0 offen     // 000000008754: E05C1000 80839829
	v_mfma_f32_16x16x32_fp8_fp8 v[184:187], a[74:75], v[146:147], v[184:187]// 00000000875C: D3F300B8 0EE3254A
	v_mfma_f32_16x16x32_fp8_fp8 v[188:191], a[72:73], v[164:165], v[188:191]// 000000008764: D3F300BC 0EF34948
	v_mfma_f32_16x16x32_fp8_fp8 v[188:191], a[74:75], v[166:167], v[188:191]// 00000000876C: D3F300BC 0EF34D4A
	v_mfma_f32_16x16x32_fp8_fp8 v[192:195], a[76:77], v[144:145], v[192:195]// 000000008774: D3F300C0 0F03214C
	buffer_load_dwordx4 a[156:159], v42, s[12:15], 0 offen     // 00000000877C: E05C1000 80839C2A
	v_mfma_f32_16x16x32_fp8_fp8 v[192:195], a[78:79], v[146:147], v[192:195]// 000000008784: D3F300C0 0F03254E
	v_mfma_f32_16x16x32_fp8_fp8 v[196:199], a[76:77], v[164:165], v[196:199]// 00000000878C: D3F300C4 0F13494C
	v_mfma_f32_16x16x32_fp8_fp8 v[196:199], a[78:79], v[166:167], v[196:199]// 000000008794: D3F300C4 0F134D4E
	s_add_u32 s60, 0x200, s80                                  // 00000000879C: 803C50FF 00000200
	s_cmp_lt_u32 s60, s81                                      // 0000000087A4: BF0A513C
	s_cselect_b32 s56, s56, 0                                  // 0000000087A8: 85388038
	s_cselect_b32 s78, s78, 0                                  // 0000000087AC: 854E804E
	s_cselect_b32 s79, s79, 0                                  // 0000000087B0: 854F804F
	s_add_u32 s12, s56, s12                                    // 0000000087B4: 800C0C38
	s_addc_u32 s13, 0, s13                                     // 0000000087B8: 820D0D80
	s_add_u32 s16, s79, s16                                    // 0000000087BC: 8010104F
	s_addc_u32 s17, 0, s17                                     // 0000000087C0: 82111180
	v_mul_f32_e32 v168, v24, v168                              // 0000000087C4: 0B515118
	v_mul_f32_e32 v169, v24, v169                              // 0000000087C8: 0B535318
	v_mul_f32_e32 v170, v24, v170                              // 0000000087CC: 0B555518
	v_mul_f32_e32 v171, v24, v171                              // 0000000087D0: 0B575718
	v_mul_f32_dpp v168, v12, v168 row_newbcast:0 row_mask:0xf bank_mask:0xf// 0000000087D4: 0B5150FA FF01500C
	v_mul_f32_dpp v169, v12, v169 row_newbcast:1 row_mask:0xf bank_mask:0xf// 0000000087DC: 0B5352FA FF01510C
	v_mul_f32_dpp v170, v12, v170 row_newbcast:2 row_mask:0xf bank_mask:0xf// 0000000087E4: 0B5554FA FF01520C
	v_mul_f32_dpp v171, v12, v171 row_newbcast:3 row_mask:0xf bank_mask:0xf// 0000000087EC: 0B5756FA FF01530C
	v_mul_f32_e32 v168, v20, v168                              // 0000000087F4: 0B515114
	v_mul_f32_e32 v169, v20, v169                              // 0000000087F8: 0B535314
	v_mul_f32_e32 v170, v20, v170                              // 0000000087FC: 0B555514
	v_mul_f32_e32 v171, v20, v171                              // 000000008800: 0B575714
	v_mul_f32_e32 v172, v25, v172                              // 000000008804: 0B595919
	v_mul_f32_e32 v173, v25, v173                              // 000000008808: 0B5B5B19
	v_mul_f32_e32 v174, v25, v174                              // 00000000880C: 0B5D5D19
	v_mul_f32_e32 v175, v25, v175                              // 000000008810: 0B5F5F19
	v_mul_f32_dpp v172, v12, v172 row_newbcast:0 row_mask:0xf bank_mask:0xf// 000000008814: 0B5958FA FF01500C
	v_mul_f32_dpp v173, v12, v173 row_newbcast:1 row_mask:0xf bank_mask:0xf// 00000000881C: 0B5B5AFA FF01510C
	v_mul_f32_dpp v174, v12, v174 row_newbcast:2 row_mask:0xf bank_mask:0xf// 000000008824: 0B5D5CFA FF01520C
	v_mul_f32_dpp v175, v12, v175 row_newbcast:3 row_mask:0xf bank_mask:0xf// 00000000882C: 0B5F5EFA FF01530C
	v_mul_f32_e32 v172, v21, v172                              // 000000008834: 0B595915
	v_mul_f32_e32 v173, v21, v173                              // 000000008838: 0B5B5B15
	v_mul_f32_e32 v174, v21, v174                              // 00000000883C: 0B5D5D15
	v_mul_f32_e32 v175, v21, v175                              // 000000008840: 0B5F5F15
	v_mul_f32_e32 v176, v24, v176                              // 000000008844: 0B616118
	v_mul_f32_e32 v177, v24, v177                              // 000000008848: 0B636318
	v_mul_f32_e32 v178, v24, v178                              // 00000000884C: 0B656518
	v_mul_f32_e32 v179, v24, v179                              // 000000008850: 0B676718
	v_mul_f32_dpp v176, v12, v176 row_newbcast:4 row_mask:0xf bank_mask:0xf// 000000008854: 0B6160FA FF01540C
	v_mul_f32_dpp v177, v12, v177 row_newbcast:5 row_mask:0xf bank_mask:0xf// 00000000885C: 0B6362FA FF01550C
	v_mul_f32_dpp v178, v12, v178 row_newbcast:6 row_mask:0xf bank_mask:0xf// 000000008864: 0B6564FA FF01560C
	v_mul_f32_dpp v179, v12, v179 row_newbcast:7 row_mask:0xf bank_mask:0xf// 00000000886C: 0B6766FA FF01570C
	v_mul_f32_e32 v176, v20, v176                              // 000000008874: 0B616114
	v_mul_f32_e32 v177, v20, v177                              // 000000008878: 0B636314
	v_mul_f32_e32 v178, v20, v178                              // 00000000887C: 0B656514
	v_mul_f32_e32 v179, v20, v179                              // 000000008880: 0B676714
	v_mul_f32_e32 v180, v25, v180                              // 000000008884: 0B696919
	v_mul_f32_e32 v181, v25, v181                              // 000000008888: 0B6B6B19
	v_mul_f32_e32 v182, v25, v182                              // 00000000888C: 0B6D6D19
	v_mul_f32_e32 v183, v25, v183                              // 000000008890: 0B6F6F19
	v_mul_f32_dpp v180, v12, v180 row_newbcast:4 row_mask:0xf bank_mask:0xf// 000000008894: 0B6968FA FF01540C
	v_mul_f32_dpp v181, v12, v181 row_newbcast:5 row_mask:0xf bank_mask:0xf// 00000000889C: 0B6B6AFA FF01550C
	v_mul_f32_dpp v182, v12, v182 row_newbcast:6 row_mask:0xf bank_mask:0xf// 0000000088A4: 0B6D6CFA FF01560C
	v_mul_f32_dpp v183, v12, v183 row_newbcast:7 row_mask:0xf bank_mask:0xf// 0000000088AC: 0B6F6EFA FF01570C
	v_mul_f32_e32 v180, v21, v180                              // 0000000088B4: 0B696915
	v_mul_f32_e32 v181, v21, v181                              // 0000000088B8: 0B6B6B15
	v_mul_f32_e32 v182, v21, v182                              // 0000000088BC: 0B6D6D15
	v_mul_f32_e32 v183, v21, v183                              // 0000000088C0: 0B6F6F15
	v_mul_f32_e32 v184, v24, v184                              // 0000000088C4: 0B717118
	v_mul_f32_e32 v185, v24, v185                              // 0000000088C8: 0B737318
	v_mul_f32_e32 v186, v24, v186                              // 0000000088CC: 0B757518
	v_mul_f32_e32 v187, v24, v187                              // 0000000088D0: 0B777718
	v_mul_f32_dpp v184, v12, v184 row_newbcast:8 row_mask:0xf bank_mask:0xf// 0000000088D4: 0B7170FA FF01580C
	v_mul_f32_dpp v185, v12, v185 row_newbcast:9 row_mask:0xf bank_mask:0xf// 0000000088DC: 0B7372FA FF01590C
	v_mul_f32_dpp v186, v12, v186 row_newbcast:10 row_mask:0xf bank_mask:0xf// 0000000088E4: 0B7574FA FF015A0C
	v_mul_f32_dpp v187, v12, v187 row_newbcast:11 row_mask:0xf bank_mask:0xf// 0000000088EC: 0B7776FA FF015B0C
	v_mul_f32_e32 v184, v20, v184                              // 0000000088F4: 0B717114
	v_mul_f32_e32 v185, v20, v185                              // 0000000088F8: 0B737314
	v_mul_f32_e32 v186, v20, v186                              // 0000000088FC: 0B757514
	v_mul_f32_e32 v187, v20, v187                              // 000000008900: 0B777714
	v_mul_f32_e32 v188, v25, v188                              // 000000008904: 0B797919
	v_mul_f32_e32 v189, v25, v189                              // 000000008908: 0B7B7B19
	v_mul_f32_e32 v190, v25, v190                              // 00000000890C: 0B7D7D19
	v_mul_f32_e32 v191, v25, v191                              // 000000008910: 0B7F7F19
	v_mul_f32_dpp v188, v12, v188 row_newbcast:8 row_mask:0xf bank_mask:0xf// 000000008914: 0B7978FA FF01580C
	v_mul_f32_dpp v189, v12, v189 row_newbcast:9 row_mask:0xf bank_mask:0xf// 00000000891C: 0B7B7AFA FF01590C
	v_mul_f32_dpp v190, v12, v190 row_newbcast:10 row_mask:0xf bank_mask:0xf// 000000008924: 0B7D7CFA FF015A0C
	v_mul_f32_dpp v191, v12, v191 row_newbcast:11 row_mask:0xf bank_mask:0xf// 00000000892C: 0B7F7EFA FF015B0C
	v_mul_f32_e32 v188, v21, v188                              // 000000008934: 0B797915
	v_mul_f32_e32 v189, v21, v189                              // 000000008938: 0B7B7B15
	v_mul_f32_e32 v190, v21, v190                              // 00000000893C: 0B7D7D15
	v_mul_f32_e32 v191, v21, v191                              // 000000008940: 0B7F7F15
	v_mul_f32_e32 v192, v24, v192                              // 000000008944: 0B818118
	v_mul_f32_e32 v193, v24, v193                              // 000000008948: 0B838318
	v_mul_f32_e32 v194, v24, v194                              // 00000000894C: 0B858518
	v_mul_f32_e32 v195, v24, v195                              // 000000008950: 0B878718
	v_mul_f32_dpp v192, v12, v192 row_newbcast:12 row_mask:0xf bank_mask:0xf// 000000008954: 0B8180FA FF015C0C
	v_mul_f32_dpp v193, v12, v193 row_newbcast:13 row_mask:0xf bank_mask:0xf// 00000000895C: 0B8382FA FF015D0C
	v_mul_f32_dpp v194, v12, v194 row_newbcast:14 row_mask:0xf bank_mask:0xf// 000000008964: 0B8584FA FF015E0C
	v_mul_f32_dpp v195, v12, v195 row_newbcast:15 row_mask:0xf bank_mask:0xf// 00000000896C: 0B8786FA FF015F0C
	v_mul_f32_e32 v192, v20, v192                              // 000000008974: 0B818114
	v_mul_f32_e32 v193, v20, v193                              // 000000008978: 0B838314
	v_mul_f32_e32 v194, v20, v194                              // 00000000897C: 0B858514
	v_mul_f32_e32 v195, v20, v195                              // 000000008980: 0B878714
	v_mul_f32_e32 v196, v25, v196                              // 000000008984: 0B898919
	v_mul_f32_e32 v197, v25, v197                              // 000000008988: 0B8B8B19
	v_mul_f32_e32 v198, v25, v198                              // 00000000898C: 0B8D8D19
	v_mul_f32_e32 v199, v25, v199                              // 000000008990: 0B8F8F19
	v_mul_f32_dpp v196, v12, v196 row_newbcast:12 row_mask:0xf bank_mask:0xf// 000000008994: 0B8988FA FF015C0C
	v_mul_f32_dpp v197, v12, v197 row_newbcast:13 row_mask:0xf bank_mask:0xf// 00000000899C: 0B8B8AFA FF015D0C
	v_mul_f32_dpp v198, v12, v198 row_newbcast:14 row_mask:0xf bank_mask:0xf// 0000000089A4: 0B8D8CFA FF015E0C
	v_mul_f32_dpp v199, v12, v199 row_newbcast:15 row_mask:0xf bank_mask:0xf// 0000000089AC: 0B8F8EFA FF015F0C
	v_mul_f32_e32 v196, v21, v196                              // 0000000089B4: 0B898915
	v_mul_f32_e32 v197, v21, v197                              // 0000000089B8: 0B8B8B15
	v_mul_f32_e32 v198, v21, v198                              // 0000000089BC: 0B8D8D15
	v_mul_f32_e32 v199, v21, v199                              // 0000000089C0: 0B8F8F15
	v_cvt_pkrtz_f16_f32 v168, v168, v169                       // 0000000089C4: D29600A8 000353A8
	v_cvt_pkrtz_f16_f32 v169, v170, v171                       // 0000000089CC: D29600A9 000357AA
	v_cvt_pkrtz_f16_f32 v170, v172, v173                       // 0000000089D4: D29600AA 00035BAC
	v_cvt_pkrtz_f16_f32 v171, v174, v175                       // 0000000089DC: D29600AB 00035FAE
	v_cvt_pkrtz_f16_f32 v172, v176, v177                       // 0000000089E4: D29600AC 000363B0
	v_cvt_pkrtz_f16_f32 v173, v178, v179                       // 0000000089EC: D29600AD 000367B2
	v_cvt_pkrtz_f16_f32 v174, v180, v181                       // 0000000089F4: D29600AE 00036BB4
	v_cvt_pkrtz_f16_f32 v175, v182, v183                       // 0000000089FC: D29600AF 00036FB6
	v_cvt_pkrtz_f16_f32 v176, v184, v185                       // 000000008A04: D29600B0 000373B8
	v_cvt_pkrtz_f16_f32 v177, v186, v187                       // 000000008A0C: D29600B1 000377BA
	v_cvt_pkrtz_f16_f32 v178, v188, v189                       // 000000008A14: D29600B2 00037BBC
	v_cvt_pkrtz_f16_f32 v179, v190, v191                       // 000000008A1C: D29600B3 00037FBE
	v_cvt_pkrtz_f16_f32 v180, v192, v193                       // 000000008A24: D29600B4 000383C0
	v_cvt_pkrtz_f16_f32 v181, v194, v195                       // 000000008A2C: D29600B5 000387C2
	v_cvt_pkrtz_f16_f32 v182, v196, v197                       // 000000008A34: D29600B6 00038BC4
	v_cvt_pkrtz_f16_f32 v183, v198, v199                       // 000000008A3C: D29600B7 00038FC6
	ds_write_b64 v3, v[168:169] offset:28928                   // 000000008A44: D89A7100 0000A803
	ds_write_b64 v3, v[170:171] offset:37632                   // 000000008A4C: D89A9300 0000AA03
	ds_write_b64 v3, v[172:173] offset:31104                   // 000000008A54: D89A7980 0000AC03
	ds_write_b64 v3, v[174:175] offset:39808                   // 000000008A5C: D89A9B80 0000AE03
	ds_write_b64 v3, v[176:177] offset:33280                   // 000000008A64: D89A8200 0000B003
	ds_write_b64 v3, v[178:179] offset:41984                   // 000000008A6C: D89AA400 0000B203
	ds_write_b64 v3, v[180:181] offset:35456                   // 000000008A74: D89A8A80 0000B403
	ds_write_b64 v3, v[182:183] offset:44160                   // 000000008A7C: D89AAC80 0000B603
	s_waitcnt lgkmcnt(0)                                       // 000000008A84: BF8CC07F
	s_barrier                                                  // 000000008A88: BF8A0000
	ds_read_b32 v64, v4 offset:28928                           // 000000008A8C: D86C7100 40000004
	ds_read_b32 v65, v4 offset:33280                           // 000000008A94: D86C8200 41000004
	ds_read_b32 v66, v4 offset:28960                           // 000000008A9C: D86C7120 42000004
	ds_read_b32 v67, v4 offset:33312                           // 000000008AA4: D86C8220 43000004
	ds_read_b32 v68, v4 offset:28992                           // 000000008AAC: D86C7140 44000004
	ds_read_b32 v69, v4 offset:33344                           // 000000008AB4: D86C8240 45000004
	ds_read_b32 v70, v4 offset:29024                           // 000000008ABC: D86C7160 46000004
	ds_read_b32 v71, v4 offset:33376                           // 000000008AC4: D86C8260 47000004
	ds_read_b32 v72, v4 offset:37632                           // 000000008ACC: D86C9300 48000004
	ds_read_b32 v73, v4 offset:41984                           // 000000008AD4: D86CA400 49000004
	ds_read_b32 v74, v4 offset:37664                           // 000000008ADC: D86C9320 4A000004
	ds_read_b32 v75, v4 offset:42016                           // 000000008AE4: D86CA420 4B000004
	ds_read_b32 v76, v4 offset:37696                           // 000000008AEC: D86C9340 4C000004
	ds_read_b32 v77, v4 offset:42048                           // 000000008AF4: D86CA440 4D000004
	ds_read_b32 v78, v4 offset:37728                           // 000000008AFC: D86C9360 4E000004
	ds_read_b32 v79, v4 offset:42080                           // 000000008B04: D86CA460 4F000004
	s_waitcnt lgkmcnt(0)                                       // 000000008B0C: BF8CC07F
	s_mov_b64 exec, s[20:21]                                   // 000000008B10: BEFE0114
	global_atomic_pk_add_f16 v80, v64, s[8:9]                  // 000000008B14: DD388000 00084050
	s_mov_b64 exec, s[36:37]                                   // 000000008B1C: BEFE0124
	s_mov_b64 exec, s[20:21]                                   // 000000008B20: BEFE0114
	global_atomic_pk_add_f16 v80, v65, s[8:9] offset:256       // 000000008B24: DD388100 00084150
	s_mov_b64 exec, s[36:37]                                   // 000000008B2C: BEFE0124
	s_mov_b64 exec, s[22:23]                                   // 000000008B30: BEFE0116
	global_atomic_pk_add_f16 v82, v66, s[8:9]                  // 000000008B34: DD388000 00084252
	s_mov_b64 exec, s[36:37]                                   // 000000008B3C: BEFE0124
	s_mov_b64 exec, s[22:23]                                   // 000000008B40: BEFE0116
	global_atomic_pk_add_f16 v82, v67, s[8:9] offset:256       // 000000008B44: DD388100 00084352
	s_mov_b64 exec, s[36:37]                                   // 000000008B4C: BEFE0124
	s_mov_b64 exec, s[24:25]                                   // 000000008B50: BEFE0118
	global_atomic_pk_add_f16 v84, v68, s[8:9]                  // 000000008B54: DD388000 00084454
	s_mov_b64 exec, s[36:37]                                   // 000000008B5C: BEFE0124
	s_mov_b64 exec, s[24:25]                                   // 000000008B60: BEFE0118
	global_atomic_pk_add_f16 v84, v69, s[8:9] offset:256       // 000000008B64: DD388100 00084554
	s_mov_b64 exec, s[36:37]                                   // 000000008B6C: BEFE0124
	s_mov_b64 exec, s[26:27]                                   // 000000008B70: BEFE011A
	global_atomic_pk_add_f16 v86, v70, s[8:9]                  // 000000008B74: DD388000 00084656
	s_mov_b64 exec, s[36:37]                                   // 000000008B7C: BEFE0124
	s_mov_b64 exec, s[26:27]                                   // 000000008B80: BEFE011A
	global_atomic_pk_add_f16 v86, v71, s[8:9] offset:256       // 000000008B84: DD388100 00084756
	s_mov_b64 exec, s[36:37]                                   // 000000008B8C: BEFE0124
	s_mov_b64 exec, s[28:29]                                   // 000000008B90: BEFE011C
	global_atomic_pk_add_f16 v88, v72, s[8:9]                  // 000000008B94: DD388000 00084858
	s_mov_b64 exec, s[36:37]                                   // 000000008B9C: BEFE0124
	s_mov_b64 exec, s[28:29]                                   // 000000008BA0: BEFE011C
	global_atomic_pk_add_f16 v88, v73, s[8:9] offset:256       // 000000008BA4: DD388100 00084958
	s_mov_b64 exec, s[36:37]                                   // 000000008BAC: BEFE0124
	s_mov_b64 exec, s[30:31]                                   // 000000008BB0: BEFE011E
	global_atomic_pk_add_f16 v90, v74, s[8:9]                  // 000000008BB4: DD388000 00084A5A
	s_mov_b64 exec, s[36:37]                                   // 000000008BBC: BEFE0124
	s_mov_b64 exec, s[30:31]                                   // 000000008BC0: BEFE011E
	global_atomic_pk_add_f16 v90, v75, s[8:9] offset:256       // 000000008BC4: DD388100 00084B5A
	s_mov_b64 exec, s[36:37]                                   // 000000008BCC: BEFE0124
	s_mov_b64 exec, s[32:33]                                   // 000000008BD0: BEFE0120
	global_atomic_pk_add_f16 v92, v76, s[8:9]                  // 000000008BD4: DD388000 00084C5C
	s_mov_b64 exec, s[36:37]                                   // 000000008BDC: BEFE0124
	s_mov_b64 exec, s[32:33]                                   // 000000008BE0: BEFE0120
	global_atomic_pk_add_f16 v92, v77, s[8:9] offset:256       // 000000008BE4: DD388100 00084D5C
	s_mov_b64 exec, s[36:37]                                   // 000000008BEC: BEFE0124
	s_mov_b64 exec, s[34:35]                                   // 000000008BF0: BEFE0122
	global_atomic_pk_add_f16 v94, v78, s[8:9]                  // 000000008BF4: DD388000 00084E5E
	s_mov_b64 exec, s[36:37]                                   // 000000008BFC: BEFE0124
	s_mov_b64 exec, s[34:35]                                   // 000000008C00: BEFE0122
	global_atomic_pk_add_f16 v94, v79, s[8:9] offset:256       // 000000008C04: DD388100 00084F5E
	s_mov_b64 exec, s[36:37]                                   // 000000008C0C: BEFE0124
	s_add_u32 s8, s59, s8                                      // 000000008C10: 8008083B
	s_addc_u32 s9, 0, s9                                       // 000000008C14: 82090980
	s_addk_i32 s80, 0x100                                      // 000000008C18: B7500100
	s_cmp_lt_i32 s80, s81                                      // 000000008C1C: BF045150
	s_cbranch_scc0 label_0E16                                  // 000000008C20: BF84F68D
	s_waitcnt vmcnt(33)                                        // 000000008C24: BF8C8F71
	s_barrier                                                  // 000000008C28: BF8A0000
	v_mfma_f32_16x16x32_fp8_fp8 v[200:203], a[80:81], v[128:129], 0// 000000008C2C: D3F300C8 0A030150
	buffer_load_dwordx4 a[0:3], v39, s[12:15], 0 offen         // 000000008C34: E05C1000 80830027
	v_mfma_f32_16x16x32_fp8_fp8 v[200:203], a[82:83], v[130:131], v[200:203]// 000000008C3C: D3F300C8 0F230552
	v_mfma_f32_16x16x32_fp8_fp8 v[204:207], a[80:81], v[148:149], 0// 000000008C44: D3F300CC 0A032950
	v_mfma_f32_16x16x32_fp8_fp8 v[204:207], a[82:83], v[150:151], v[204:207]// 000000008C4C: D3F300CC 0F332D52
	v_mfma_f32_16x16x32_fp8_fp8 v[208:211], a[84:85], v[128:129], 0// 000000008C54: D3F300D0 0A030154
	buffer_load_dwordx4 a[4:7], v40, s[12:15], 0 offen         // 000000008C5C: E05C1000 80830428
	v_mfma_f32_16x16x32_fp8_fp8 v[208:211], a[86:87], v[130:131], v[208:211]// 000000008C64: D3F300D0 0F430556
	v_mfma_f32_16x16x32_fp8_fp8 v[212:215], a[84:85], v[148:149], 0// 000000008C6C: D3F300D4 0A032954
	v_mfma_f32_16x16x32_fp8_fp8 v[212:215], a[86:87], v[150:151], v[212:215]// 000000008C74: D3F300D4 0F532D56
	v_mfma_f32_16x16x32_fp8_fp8 v[216:219], a[88:89], v[128:129], 0// 000000008C7C: D3F300D8 0A030158
	buffer_load_dwordx4 a[8:11], v41, s[12:15], 0 offen        // 000000008C84: E05C1000 80830829
	v_mfma_f32_16x16x32_fp8_fp8 v[216:219], a[90:91], v[130:131], v[216:219]// 000000008C8C: D3F300D8 0F63055A
	v_mfma_f32_16x16x32_fp8_fp8 v[220:223], a[88:89], v[148:149], 0// 000000008C94: D3F300DC 0A032958
	v_mfma_f32_16x16x32_fp8_fp8 v[220:223], a[90:91], v[150:151], v[220:223]// 000000008C9C: D3F300DC 0F732D5A
	v_mfma_f32_16x16x32_fp8_fp8 v[224:227], a[92:93], v[128:129], 0// 000000008CA4: D3F300E0 0A03015C
	buffer_load_dwordx4 a[12:15], v42, s[12:15], 0 offen       // 000000008CAC: E05C1000 80830C2A
	s_add_u32 s12, s78, s12                                    // 000000008CB4: 800C0C4E
	s_addc_u32 s13, 0, s13                                     // 000000008CB8: 820D0D80
	v_mfma_f32_16x16x32_fp8_fp8 v[224:227], a[94:95], v[130:131], v[224:227]// 000000008CBC: D3F300E0 0F83055E
	v_mfma_f32_16x16x32_fp8_fp8 v[228:231], a[92:93], v[148:149], 0// 000000008CC4: D3F300E4 0A03295C
	v_mfma_f32_16x16x32_fp8_fp8 v[228:231], a[94:95], v[150:151], v[228:231]// 000000008CCC: D3F300E4 0F932D5E
	s_waitcnt vmcnt(33)                                        // 000000008CD4: BF8C8F71
	v_mfma_f32_16x16x32_fp8_fp8 v[200:203], a[96:97], v[132:133], v[200:203]// 000000008CD8: D3F300C8 0F230960
	buffer_load_dwordx4 a[16:19], v39, s[12:15], 0 offen       // 000000008CE0: E05C1000 80831027
	v_mfma_f32_16x16x32_fp8_fp8 v[200:203], a[98:99], v[134:135], v[200:203]// 000000008CE8: D3F300C8 0F230D62
	v_mfma_f32_16x16x32_fp8_fp8 v[204:207], a[96:97], v[152:153], v[204:207]// 000000008CF0: D3F300CC 0F333160
	v_mfma_f32_16x16x32_fp8_fp8 v[204:207], a[98:99], v[154:155], v[204:207]// 000000008CF8: D3F300CC 0F333562
	v_mfma_f32_16x16x32_fp8_fp8 v[208:211], a[100:101], v[132:133], v[208:211]// 000000008D00: D3F300D0 0F430964
	buffer_load_dwordx4 a[20:23], v40, s[12:15], 0 offen       // 000000008D08: E05C1000 80831428
	v_mfma_f32_16x16x32_fp8_fp8 v[208:211], a[102:103], v[134:135], v[208:211]// 000000008D10: D3F300D0 0F430D66
	v_mfma_f32_16x16x32_fp8_fp8 v[212:215], a[100:101], v[152:153], v[212:215]// 000000008D18: D3F300D4 0F533164
	v_mfma_f32_16x16x32_fp8_fp8 v[212:215], a[102:103], v[154:155], v[212:215]// 000000008D20: D3F300D4 0F533566
	v_mfma_f32_16x16x32_fp8_fp8 v[216:219], a[104:105], v[132:133], v[216:219]// 000000008D28: D3F300D8 0F630968
	buffer_load_dwordx4 a[24:27], v41, s[12:15], 0 offen       // 000000008D30: E05C1000 80831829
	v_mfma_f32_16x16x32_fp8_fp8 v[216:219], a[106:107], v[134:135], v[216:219]// 000000008D38: D3F300D8 0F630D6A
	v_mfma_f32_16x16x32_fp8_fp8 v[220:223], a[104:105], v[152:153], v[220:223]// 000000008D40: D3F300DC 0F733168
	v_mfma_f32_16x16x32_fp8_fp8 v[220:223], a[106:107], v[154:155], v[220:223]// 000000008D48: D3F300DC 0F73356A
	v_mfma_f32_16x16x32_fp8_fp8 v[224:227], a[108:109], v[132:133], v[224:227]// 000000008D50: D3F300E0 0F83096C
	buffer_load_dwordx4 a[28:31], v42, s[12:15], 0 offen       // 000000008D58: E05C1000 80831C2A
	s_add_u32 s12, s78, s12                                    // 000000008D60: 800C0C4E
	s_addc_u32 s13, 0, s13                                     // 000000008D64: 820D0D80
	v_mfma_f32_16x16x32_fp8_fp8 v[224:227], a[110:111], v[134:135], v[224:227]// 000000008D68: D3F300E0 0F830D6E
	v_mfma_f32_16x16x32_fp8_fp8 v[228:231], a[108:109], v[152:153], v[228:231]// 000000008D70: D3F300E4 0F93316C
	v_mfma_f32_16x16x32_fp8_fp8 v[228:231], a[110:111], v[154:155], v[228:231]// 000000008D78: D3F300E4 0F93356E
	s_waitcnt vmcnt(33)                                        // 000000008D80: BF8C8F71
	v_mfma_f32_16x16x32_fp8_fp8 v[200:203], a[112:113], v[136:137], v[200:203]// 000000008D84: D3F300C8 0F231170
	buffer_load_dwordx4 a[32:35], v39, s[12:15], 0 offen       // 000000008D8C: E05C1000 80832027
	v_mfma_f32_16x16x32_fp8_fp8 v[200:203], a[114:115], v[138:139], v[200:203]// 000000008D94: D3F300C8 0F231572
	v_mfma_f32_16x16x32_fp8_fp8 v[204:207], a[112:113], v[156:157], v[204:207]// 000000008D9C: D3F300CC 0F333970
	v_mfma_f32_16x16x32_fp8_fp8 v[204:207], a[114:115], v[158:159], v[204:207]// 000000008DA4: D3F300CC 0F333D72
	v_mfma_f32_16x16x32_fp8_fp8 v[208:211], a[116:117], v[136:137], v[208:211]// 000000008DAC: D3F300D0 0F431174
	buffer_load_dwordx4 a[36:39], v40, s[12:15], 0 offen       // 000000008DB4: E05C1000 80832428
	v_mfma_f32_16x16x32_fp8_fp8 v[208:211], a[118:119], v[138:139], v[208:211]// 000000008DBC: D3F300D0 0F431576
	v_mfma_f32_16x16x32_fp8_fp8 v[212:215], a[116:117], v[156:157], v[212:215]// 000000008DC4: D3F300D4 0F533974
	v_mfma_f32_16x16x32_fp8_fp8 v[212:215], a[118:119], v[158:159], v[212:215]// 000000008DCC: D3F300D4 0F533D76
	v_mfma_f32_16x16x32_fp8_fp8 v[216:219], a[120:121], v[136:137], v[216:219]// 000000008DD4: D3F300D8 0F631178
	buffer_load_dwordx4 a[40:43], v41, s[12:15], 0 offen       // 000000008DDC: E05C1000 80832829
	v_mfma_f32_16x16x32_fp8_fp8 v[216:219], a[122:123], v[138:139], v[216:219]// 000000008DE4: D3F300D8 0F63157A
	v_mfma_f32_16x16x32_fp8_fp8 v[220:223], a[120:121], v[156:157], v[220:223]// 000000008DEC: D3F300DC 0F733978
	v_mfma_f32_16x16x32_fp8_fp8 v[220:223], a[122:123], v[158:159], v[220:223]// 000000008DF4: D3F300DC 0F733D7A
	v_mfma_f32_16x16x32_fp8_fp8 v[224:227], a[124:125], v[136:137], v[224:227]// 000000008DFC: D3F300E0 0F83117C
	buffer_load_dwordx4 a[44:47], v42, s[12:15], 0 offen       // 000000008E04: E05C1000 80832C2A
	s_add_u32 s12, s78, s12                                    // 000000008E0C: 800C0C4E
	s_addc_u32 s13, 0, s13                                     // 000000008E10: 820D0D80
	v_mfma_f32_16x16x32_fp8_fp8 v[224:227], a[126:127], v[138:139], v[224:227]// 000000008E14: D3F300E0 0F83157E
	v_mfma_f32_16x16x32_fp8_fp8 v[228:231], a[124:125], v[156:157], v[228:231]// 000000008E1C: D3F300E4 0F93397C
	v_mfma_f32_16x16x32_fp8_fp8 v[228:231], a[126:127], v[158:159], v[228:231]// 000000008E24: D3F300E4 0F933D7E
	s_waitcnt vmcnt(33)                                        // 000000008E2C: BF8C8F71
	v_mfma_f32_16x16x32_fp8_fp8 v[200:203], a[128:129], v[140:141], v[200:203]// 000000008E30: D3F300C8 0F231980
	buffer_load_dwordx4 a[48:51], v39, s[12:15], 0 offen       // 000000008E38: E05C1000 80833027
	v_mfma_f32_16x16x32_fp8_fp8 v[200:203], a[130:131], v[142:143], v[200:203]// 000000008E40: D3F300C8 0F231D82
	v_mfma_f32_16x16x32_fp8_fp8 v[204:207], a[128:129], v[160:161], v[204:207]// 000000008E48: D3F300CC 0F334180
	v_mfma_f32_16x16x32_fp8_fp8 v[204:207], a[130:131], v[162:163], v[204:207]// 000000008E50: D3F300CC 0F334582
	v_mfma_f32_16x16x32_fp8_fp8 v[208:211], a[132:133], v[140:141], v[208:211]// 000000008E58: D3F300D0 0F431984
	buffer_load_dwordx4 a[52:55], v40, s[12:15], 0 offen       // 000000008E60: E05C1000 80833428
	v_mfma_f32_16x16x32_fp8_fp8 v[208:211], a[134:135], v[142:143], v[208:211]// 000000008E68: D3F300D0 0F431D86
	v_mfma_f32_16x16x32_fp8_fp8 v[212:215], a[132:133], v[160:161], v[212:215]// 000000008E70: D3F300D4 0F534184
	v_mfma_f32_16x16x32_fp8_fp8 v[212:215], a[134:135], v[162:163], v[212:215]// 000000008E78: D3F300D4 0F534586
	v_mfma_f32_16x16x32_fp8_fp8 v[216:219], a[136:137], v[140:141], v[216:219]// 000000008E80: D3F300D8 0F631988
	buffer_load_dwordx4 a[56:59], v41, s[12:15], 0 offen       // 000000008E88: E05C1000 80833829
	v_mfma_f32_16x16x32_fp8_fp8 v[216:219], a[138:139], v[142:143], v[216:219]// 000000008E90: D3F300D8 0F631D8A
	v_mfma_f32_16x16x32_fp8_fp8 v[220:223], a[136:137], v[160:161], v[220:223]// 000000008E98: D3F300DC 0F734188
	v_mfma_f32_16x16x32_fp8_fp8 v[220:223], a[138:139], v[162:163], v[220:223]// 000000008EA0: D3F300DC 0F73458A
	v_mfma_f32_16x16x32_fp8_fp8 v[224:227], a[140:141], v[140:141], v[224:227]// 000000008EA8: D3F300E0 0F83198C
	buffer_load_dwordx4 a[60:63], v42, s[12:15], 0 offen       // 000000008EB0: E05C1000 80833C2A
	s_add_u32 s12, s78, s12                                    // 000000008EB8: 800C0C4E
	s_addc_u32 s13, 0, s13                                     // 000000008EBC: 820D0D80
	v_mfma_f32_16x16x32_fp8_fp8 v[224:227], a[142:143], v[142:143], v[224:227]// 000000008EC0: D3F300E0 0F831D8E
	v_mfma_f32_16x16x32_fp8_fp8 v[228:231], a[140:141], v[160:161], v[228:231]// 000000008EC8: D3F300E4 0F93418C
	v_mfma_f32_16x16x32_fp8_fp8 v[228:231], a[142:143], v[162:163], v[228:231]// 000000008ED0: D3F300E4 0F93458E
	s_waitcnt vmcnt(32)                                        // 000000008ED8: BF8C8F70
	v_mfma_f32_16x16x32_fp8_fp8 v[200:203], a[144:145], v[144:145], v[200:203]// 000000008EDC: D3F300C8 0F232190
	buffer_load_dwordx4 a[64:67], v39, s[12:15], 0 offen       // 000000008EE4: E05C1000 80834027
	v_mfma_f32_16x16x32_fp8_fp8 v[200:203], a[146:147], v[146:147], v[200:203]// 000000008EEC: D3F300C8 0F232592
	v_mfma_f32_16x16x32_fp8_fp8 v[204:207], a[144:145], v[164:165], v[204:207]// 000000008EF4: D3F300CC 0F334990
	buffer_load_dword v12, v5, s[16:19], 0 offen               // 000000008EFC: E0501000 80040C05
	v_mfma_f32_16x16x32_fp8_fp8 v[204:207], a[146:147], v[166:167], v[204:207]// 000000008F04: D3F300CC 0F334D92
	v_mfma_f32_16x16x32_fp8_fp8 v[208:211], a[148:149], v[144:145], v[208:211]// 000000008F0C: D3F300D0 0F432194
	buffer_load_dwordx4 a[68:71], v40, s[12:15], 0 offen       // 000000008F14: E05C1000 80834428
	v_mfma_f32_16x16x32_fp8_fp8 v[208:211], a[150:151], v[146:147], v[208:211]// 000000008F1C: D3F300D0 0F432596
	v_mfma_f32_16x16x32_fp8_fp8 v[212:215], a[148:149], v[164:165], v[212:215]// 000000008F24: D3F300D4 0F534994
	v_mfma_f32_16x16x32_fp8_fp8 v[212:215], a[150:151], v[166:167], v[212:215]// 000000008F2C: D3F300D4 0F534D96
	v_mfma_f32_16x16x32_fp8_fp8 v[216:219], a[152:153], v[144:145], v[216:219]// 000000008F34: D3F300D8 0F632198
	buffer_load_dwordx4 a[72:75], v41, s[12:15], 0 offen       // 000000008F3C: E05C1000 80834829
	v_mfma_f32_16x16x32_fp8_fp8 v[216:219], a[154:155], v[146:147], v[216:219]// 000000008F44: D3F300D8 0F63259A
	v_mfma_f32_16x16x32_fp8_fp8 v[220:223], a[152:153], v[164:165], v[220:223]// 000000008F4C: D3F300DC 0F734998
	v_mfma_f32_16x16x32_fp8_fp8 v[220:223], a[154:155], v[166:167], v[220:223]// 000000008F54: D3F300DC 0F734D9A
	v_mfma_f32_16x16x32_fp8_fp8 v[224:227], a[156:157], v[144:145], v[224:227]// 000000008F5C: D3F300E0 0F83219C
	buffer_load_dwordx4 a[76:79], v42, s[12:15], 0 offen       // 000000008F64: E05C1000 80834C2A
	v_mfma_f32_16x16x32_fp8_fp8 v[224:227], a[158:159], v[146:147], v[224:227]// 000000008F6C: D3F300E0 0F83259E
	v_mfma_f32_16x16x32_fp8_fp8 v[228:231], a[156:157], v[164:165], v[228:231]// 000000008F74: D3F300E4 0F93499C
	v_mfma_f32_16x16x32_fp8_fp8 v[228:231], a[158:159], v[166:167], v[228:231]// 000000008F7C: D3F300E4 0F934D9E
	s_add_u32 s60, 0x200, s80                                  // 000000008F84: 803C50FF 00000200
	s_cmp_lt_u32 s60, s81                                      // 000000008F8C: BF0A513C
	s_cselect_b32 s56, s56, 0                                  // 000000008F90: 85388038
	s_cselect_b32 s78, s78, 0                                  // 000000008F94: 854E804E
	s_cselect_b32 s79, s79, 0                                  // 000000008F98: 854F804F
	s_add_u32 s12, s56, s12                                    // 000000008F9C: 800C0C38
	s_addc_u32 s13, 0, s13                                     // 000000008FA0: 820D0D80
	s_add_u32 s16, s79, s16                                    // 000000008FA4: 8010104F
	s_addc_u32 s17, 0, s17                                     // 000000008FA8: 82111180
	v_mul_f32_e32 v200, v24, v200                              // 000000008FAC: 0B919118
	v_mul_f32_e32 v201, v24, v201                              // 000000008FB0: 0B939318
	v_mul_f32_e32 v202, v24, v202                              // 000000008FB4: 0B959518
	v_mul_f32_e32 v203, v24, v203                              // 000000008FB8: 0B979718
	v_mul_f32_dpp v200, v13, v200 row_newbcast:0 row_mask:0xf bank_mask:0xf// 000000008FBC: 0B9190FA FF01500D
	v_mul_f32_dpp v201, v13, v201 row_newbcast:1 row_mask:0xf bank_mask:0xf// 000000008FC4: 0B9392FA FF01510D
	v_mul_f32_dpp v202, v13, v202 row_newbcast:2 row_mask:0xf bank_mask:0xf// 000000008FCC: 0B9594FA FF01520D
	v_mul_f32_dpp v203, v13, v203 row_newbcast:3 row_mask:0xf bank_mask:0xf// 000000008FD4: 0B9796FA FF01530D
	v_mul_f32_e32 v200, v20, v200                              // 000000008FDC: 0B919114
	v_mul_f32_e32 v201, v20, v201                              // 000000008FE0: 0B939314
	v_mul_f32_e32 v202, v20, v202                              // 000000008FE4: 0B959514
	v_mul_f32_e32 v203, v20, v203                              // 000000008FE8: 0B979714
	v_mul_f32_e32 v204, v25, v204                              // 000000008FEC: 0B999919
	v_mul_f32_e32 v205, v25, v205                              // 000000008FF0: 0B9B9B19
	v_mul_f32_e32 v206, v25, v206                              // 000000008FF4: 0B9D9D19
	v_mul_f32_e32 v207, v25, v207                              // 000000008FF8: 0B9F9F19
	v_mul_f32_dpp v204, v13, v204 row_newbcast:0 row_mask:0xf bank_mask:0xf// 000000008FFC: 0B9998FA FF01500D
	v_mul_f32_dpp v205, v13, v205 row_newbcast:1 row_mask:0xf bank_mask:0xf// 000000009004: 0B9B9AFA FF01510D
	v_mul_f32_dpp v206, v13, v206 row_newbcast:2 row_mask:0xf bank_mask:0xf// 00000000900C: 0B9D9CFA FF01520D
	v_mul_f32_dpp v207, v13, v207 row_newbcast:3 row_mask:0xf bank_mask:0xf// 000000009014: 0B9F9EFA FF01530D
	v_mul_f32_e32 v204, v21, v204                              // 00000000901C: 0B999915
	v_mul_f32_e32 v205, v21, v205                              // 000000009020: 0B9B9B15
	v_mul_f32_e32 v206, v21, v206                              // 000000009024: 0B9D9D15
	v_mul_f32_e32 v207, v21, v207                              // 000000009028: 0B9F9F15
	v_mul_f32_e32 v208, v24, v208                              // 00000000902C: 0BA1A118
	v_mul_f32_e32 v209, v24, v209                              // 000000009030: 0BA3A318
	v_mul_f32_e32 v210, v24, v210                              // 000000009034: 0BA5A518
	v_mul_f32_e32 v211, v24, v211                              // 000000009038: 0BA7A718
	v_mul_f32_dpp v208, v13, v208 row_newbcast:4 row_mask:0xf bank_mask:0xf// 00000000903C: 0BA1A0FA FF01540D
	v_mul_f32_dpp v209, v13, v209 row_newbcast:5 row_mask:0xf bank_mask:0xf// 000000009044: 0BA3A2FA FF01550D
	v_mul_f32_dpp v210, v13, v210 row_newbcast:6 row_mask:0xf bank_mask:0xf// 00000000904C: 0BA5A4FA FF01560D
	v_mul_f32_dpp v211, v13, v211 row_newbcast:7 row_mask:0xf bank_mask:0xf// 000000009054: 0BA7A6FA FF01570D
	v_mul_f32_e32 v208, v20, v208                              // 00000000905C: 0BA1A114
	v_mul_f32_e32 v209, v20, v209                              // 000000009060: 0BA3A314
	v_mul_f32_e32 v210, v20, v210                              // 000000009064: 0BA5A514
	v_mul_f32_e32 v211, v20, v211                              // 000000009068: 0BA7A714
	v_mul_f32_e32 v212, v25, v212                              // 00000000906C: 0BA9A919
	v_mul_f32_e32 v213, v25, v213                              // 000000009070: 0BABAB19
	v_mul_f32_e32 v214, v25, v214                              // 000000009074: 0BADAD19
	v_mul_f32_e32 v215, v25, v215                              // 000000009078: 0BAFAF19
	v_mul_f32_dpp v212, v13, v212 row_newbcast:4 row_mask:0xf bank_mask:0xf// 00000000907C: 0BA9A8FA FF01540D
	v_mul_f32_dpp v213, v13, v213 row_newbcast:5 row_mask:0xf bank_mask:0xf// 000000009084: 0BABAAFA FF01550D
	v_mul_f32_dpp v214, v13, v214 row_newbcast:6 row_mask:0xf bank_mask:0xf// 00000000908C: 0BADACFA FF01560D
	v_mul_f32_dpp v215, v13, v215 row_newbcast:7 row_mask:0xf bank_mask:0xf// 000000009094: 0BAFAEFA FF01570D
	v_mul_f32_e32 v212, v21, v212                              // 00000000909C: 0BA9A915
	v_mul_f32_e32 v213, v21, v213                              // 0000000090A0: 0BABAB15
	v_mul_f32_e32 v214, v21, v214                              // 0000000090A4: 0BADAD15
	v_mul_f32_e32 v215, v21, v215                              // 0000000090A8: 0BAFAF15
	v_mul_f32_e32 v216, v24, v216                              // 0000000090AC: 0BB1B118
	v_mul_f32_e32 v217, v24, v217                              // 0000000090B0: 0BB3B318
	v_mul_f32_e32 v218, v24, v218                              // 0000000090B4: 0BB5B518
	v_mul_f32_e32 v219, v24, v219                              // 0000000090B8: 0BB7B718
	v_mul_f32_dpp v216, v13, v216 row_newbcast:8 row_mask:0xf bank_mask:0xf// 0000000090BC: 0BB1B0FA FF01580D
	v_mul_f32_dpp v217, v13, v217 row_newbcast:9 row_mask:0xf bank_mask:0xf// 0000000090C4: 0BB3B2FA FF01590D
	v_mul_f32_dpp v218, v13, v218 row_newbcast:10 row_mask:0xf bank_mask:0xf// 0000000090CC: 0BB5B4FA FF015A0D
	v_mul_f32_dpp v219, v13, v219 row_newbcast:11 row_mask:0xf bank_mask:0xf// 0000000090D4: 0BB7B6FA FF015B0D
	v_mul_f32_e32 v216, v20, v216                              // 0000000090DC: 0BB1B114
	v_mul_f32_e32 v217, v20, v217                              // 0000000090E0: 0BB3B314
	v_mul_f32_e32 v218, v20, v218                              // 0000000090E4: 0BB5B514
	v_mul_f32_e32 v219, v20, v219                              // 0000000090E8: 0BB7B714
	v_mul_f32_e32 v220, v25, v220                              // 0000000090EC: 0BB9B919
	v_mul_f32_e32 v221, v25, v221                              // 0000000090F0: 0BBBBB19
	v_mul_f32_e32 v222, v25, v222                              // 0000000090F4: 0BBDBD19
	v_mul_f32_e32 v223, v25, v223                              // 0000000090F8: 0BBFBF19
	v_mul_f32_dpp v220, v13, v220 row_newbcast:8 row_mask:0xf bank_mask:0xf// 0000000090FC: 0BB9B8FA FF01580D
	v_mul_f32_dpp v221, v13, v221 row_newbcast:9 row_mask:0xf bank_mask:0xf// 000000009104: 0BBBBAFA FF01590D
	v_mul_f32_dpp v222, v13, v222 row_newbcast:10 row_mask:0xf bank_mask:0xf// 00000000910C: 0BBDBCFA FF015A0D
	v_mul_f32_dpp v223, v13, v223 row_newbcast:11 row_mask:0xf bank_mask:0xf// 000000009114: 0BBFBEFA FF015B0D
	v_mul_f32_e32 v220, v21, v220                              // 00000000911C: 0BB9B915
	v_mul_f32_e32 v221, v21, v221                              // 000000009120: 0BBBBB15
	v_mul_f32_e32 v222, v21, v222                              // 000000009124: 0BBDBD15
	v_mul_f32_e32 v223, v21, v223                              // 000000009128: 0BBFBF15
	v_mul_f32_e32 v224, v24, v224                              // 00000000912C: 0BC1C118
	v_mul_f32_e32 v225, v24, v225                              // 000000009130: 0BC3C318
	v_mul_f32_e32 v226, v24, v226                              // 000000009134: 0BC5C518
	v_mul_f32_e32 v227, v24, v227                              // 000000009138: 0BC7C718
	v_mul_f32_dpp v224, v13, v224 row_newbcast:12 row_mask:0xf bank_mask:0xf// 00000000913C: 0BC1C0FA FF015C0D
	v_mul_f32_dpp v225, v13, v225 row_newbcast:13 row_mask:0xf bank_mask:0xf// 000000009144: 0BC3C2FA FF015D0D
	v_mul_f32_dpp v226, v13, v226 row_newbcast:14 row_mask:0xf bank_mask:0xf// 00000000914C: 0BC5C4FA FF015E0D
	v_mul_f32_dpp v227, v13, v227 row_newbcast:15 row_mask:0xf bank_mask:0xf// 000000009154: 0BC7C6FA FF015F0D
	v_mul_f32_e32 v224, v20, v224                              // 00000000915C: 0BC1C114
	v_mul_f32_e32 v225, v20, v225                              // 000000009160: 0BC3C314
	v_mul_f32_e32 v226, v20, v226                              // 000000009164: 0BC5C514
	v_mul_f32_e32 v227, v20, v227                              // 000000009168: 0BC7C714
	v_mul_f32_e32 v228, v25, v228                              // 00000000916C: 0BC9C919
	v_mul_f32_e32 v229, v25, v229                              // 000000009170: 0BCBCB19
	v_mul_f32_e32 v230, v25, v230                              // 000000009174: 0BCDCD19
	v_mul_f32_e32 v231, v25, v231                              // 000000009178: 0BCFCF19
	v_mul_f32_dpp v228, v13, v228 row_newbcast:12 row_mask:0xf bank_mask:0xf// 00000000917C: 0BC9C8FA FF015C0D
	v_mul_f32_dpp v229, v13, v229 row_newbcast:13 row_mask:0xf bank_mask:0xf// 000000009184: 0BCBCAFA FF015D0D
	v_mul_f32_dpp v230, v13, v230 row_newbcast:14 row_mask:0xf bank_mask:0xf// 00000000918C: 0BCDCCFA FF015E0D
	v_mul_f32_dpp v231, v13, v231 row_newbcast:15 row_mask:0xf bank_mask:0xf// 000000009194: 0BCFCEFA FF015F0D
	v_mul_f32_e32 v228, v21, v228                              // 00000000919C: 0BC9C915
	v_mul_f32_e32 v229, v21, v229                              // 0000000091A0: 0BCBCB15
	v_mul_f32_e32 v230, v21, v230                              // 0000000091A4: 0BCDCD15
	v_mul_f32_e32 v231, v21, v231                              // 0000000091A8: 0BCFCF15
	v_cvt_pkrtz_f16_f32 v200, v200, v201                       // 0000000091AC: D29600C8 000393C8
	v_cvt_pkrtz_f16_f32 v201, v202, v203                       // 0000000091B4: D29600C9 000397CA
	v_cvt_pkrtz_f16_f32 v202, v204, v205                       // 0000000091BC: D29600CA 00039BCC
	v_cvt_pkrtz_f16_f32 v203, v206, v207                       // 0000000091C4: D29600CB 00039FCE
	v_cvt_pkrtz_f16_f32 v204, v208, v209                       // 0000000091CC: D29600CC 0003A3D0
	v_cvt_pkrtz_f16_f32 v205, v210, v211                       // 0000000091D4: D29600CD 0003A7D2
	v_cvt_pkrtz_f16_f32 v206, v212, v213                       // 0000000091DC: D29600CE 0003ABD4
	v_cvt_pkrtz_f16_f32 v207, v214, v215                       // 0000000091E4: D29600CF 0003AFD6
	v_cvt_pkrtz_f16_f32 v208, v216, v217                       // 0000000091EC: D29600D0 0003B3D8
	v_cvt_pkrtz_f16_f32 v209, v218, v219                       // 0000000091F4: D29600D1 0003B7DA
	v_cvt_pkrtz_f16_f32 v210, v220, v221                       // 0000000091FC: D29600D2 0003BBDC
	v_cvt_pkrtz_f16_f32 v211, v222, v223                       // 000000009204: D29600D3 0003BFDE
	v_cvt_pkrtz_f16_f32 v212, v224, v225                       // 00000000920C: D29600D4 0003C3E0
	v_cvt_pkrtz_f16_f32 v213, v226, v227                       // 000000009214: D29600D5 0003C7E2
	v_cvt_pkrtz_f16_f32 v214, v228, v229                       // 00000000921C: D29600D6 0003CBE4
	v_cvt_pkrtz_f16_f32 v215, v230, v231                       // 000000009224: D29600D7 0003CFE6
	ds_write_b64 v3, v[200:201] offset:28928                   // 00000000922C: D89A7100 0000C803
	ds_write_b64 v3, v[202:203] offset:37632                   // 000000009234: D89A9300 0000CA03
	ds_write_b64 v3, v[204:205] offset:31104                   // 00000000923C: D89A7980 0000CC03
	ds_write_b64 v3, v[206:207] offset:39808                   // 000000009244: D89A9B80 0000CE03
	ds_write_b64 v3, v[208:209] offset:33280                   // 00000000924C: D89A8200 0000D003
	ds_write_b64 v3, v[210:211] offset:41984                   // 000000009254: D89AA400 0000D203
	ds_write_b64 v3, v[212:213] offset:35456                   // 00000000925C: D89A8A80 0000D403
	ds_write_b64 v3, v[214:215] offset:44160                   // 000000009264: D89AAC80 0000D603
	s_waitcnt lgkmcnt(0)                                       // 00000000926C: BF8CC07F
	s_barrier                                                  // 000000009270: BF8A0000
	ds_read_b32 v64, v4 offset:28928                           // 000000009274: D86C7100 40000004
	ds_read_b32 v65, v4 offset:33280                           // 00000000927C: D86C8200 41000004
	ds_read_b32 v66, v4 offset:28960                           // 000000009284: D86C7120 42000004
	ds_read_b32 v67, v4 offset:33312                           // 00000000928C: D86C8220 43000004
	ds_read_b32 v68, v4 offset:28992                           // 000000009294: D86C7140 44000004
	ds_read_b32 v69, v4 offset:33344                           // 00000000929C: D86C8240 45000004
	ds_read_b32 v70, v4 offset:29024                           // 0000000092A4: D86C7160 46000004
	ds_read_b32 v71, v4 offset:33376                           // 0000000092AC: D86C8260 47000004
	ds_read_b32 v72, v4 offset:37632                           // 0000000092B4: D86C9300 48000004
	ds_read_b32 v73, v4 offset:41984                           // 0000000092BC: D86CA400 49000004
	ds_read_b32 v74, v4 offset:37664                           // 0000000092C4: D86C9320 4A000004
	ds_read_b32 v75, v4 offset:42016                           // 0000000092CC: D86CA420 4B000004
	ds_read_b32 v76, v4 offset:37696                           // 0000000092D4: D86C9340 4C000004
	ds_read_b32 v77, v4 offset:42048                           // 0000000092DC: D86CA440 4D000004
	ds_read_b32 v78, v4 offset:37728                           // 0000000092E4: D86C9360 4E000004
	ds_read_b32 v79, v4 offset:42080                           // 0000000092EC: D86CA460 4F000004
	s_waitcnt lgkmcnt(0)                                       // 0000000092F4: BF8CC07F
	s_mov_b64 exec, s[20:21]                                   // 0000000092F8: BEFE0114
	global_atomic_pk_add_f16 v80, v64, s[8:9]                  // 0000000092FC: DD388000 00084050
	s_mov_b64 exec, s[36:37]                                   // 000000009304: BEFE0124
	s_mov_b64 exec, s[20:21]                                   // 000000009308: BEFE0114
	global_atomic_pk_add_f16 v80, v65, s[8:9] offset:256       // 00000000930C: DD388100 00084150
	s_mov_b64 exec, s[36:37]                                   // 000000009314: BEFE0124
	s_mov_b64 exec, s[22:23]                                   // 000000009318: BEFE0116
	global_atomic_pk_add_f16 v82, v66, s[8:9]                  // 00000000931C: DD388000 00084252
	s_mov_b64 exec, s[36:37]                                   // 000000009324: BEFE0124
	s_mov_b64 exec, s[22:23]                                   // 000000009328: BEFE0116
	global_atomic_pk_add_f16 v82, v67, s[8:9] offset:256       // 00000000932C: DD388100 00084352
	s_mov_b64 exec, s[36:37]                                   // 000000009334: BEFE0124
	s_mov_b64 exec, s[24:25]                                   // 000000009338: BEFE0118
	global_atomic_pk_add_f16 v84, v68, s[8:9]                  // 00000000933C: DD388000 00084454
	s_mov_b64 exec, s[36:37]                                   // 000000009344: BEFE0124
	s_mov_b64 exec, s[24:25]                                   // 000000009348: BEFE0118
	global_atomic_pk_add_f16 v84, v69, s[8:9] offset:256       // 00000000934C: DD388100 00084554
	s_mov_b64 exec, s[36:37]                                   // 000000009354: BEFE0124
	s_mov_b64 exec, s[26:27]                                   // 000000009358: BEFE011A
	global_atomic_pk_add_f16 v86, v70, s[8:9]                  // 00000000935C: DD388000 00084656
	s_mov_b64 exec, s[36:37]                                   // 000000009364: BEFE0124
	s_mov_b64 exec, s[26:27]                                   // 000000009368: BEFE011A
	global_atomic_pk_add_f16 v86, v71, s[8:9] offset:256       // 00000000936C: DD388100 00084756
	s_mov_b64 exec, s[36:37]                                   // 000000009374: BEFE0124
	s_mov_b64 exec, s[28:29]                                   // 000000009378: BEFE011C
	global_atomic_pk_add_f16 v88, v72, s[8:9]                  // 00000000937C: DD388000 00084858
	s_mov_b64 exec, s[36:37]                                   // 000000009384: BEFE0124
	s_mov_b64 exec, s[28:29]                                   // 000000009388: BEFE011C
	global_atomic_pk_add_f16 v88, v73, s[8:9] offset:256       // 00000000938C: DD388100 00084958
	s_mov_b64 exec, s[36:37]                                   // 000000009394: BEFE0124
	s_mov_b64 exec, s[30:31]                                   // 000000009398: BEFE011E
	global_atomic_pk_add_f16 v90, v74, s[8:9]                  // 00000000939C: DD388000 00084A5A
	s_mov_b64 exec, s[36:37]                                   // 0000000093A4: BEFE0124
	s_mov_b64 exec, s[30:31]                                   // 0000000093A8: BEFE011E
	global_atomic_pk_add_f16 v90, v75, s[8:9] offset:256       // 0000000093AC: DD388100 00084B5A
	s_mov_b64 exec, s[36:37]                                   // 0000000093B4: BEFE0124
	s_mov_b64 exec, s[32:33]                                   // 0000000093B8: BEFE0120
	global_atomic_pk_add_f16 v92, v76, s[8:9]                  // 0000000093BC: DD388000 00084C5C
	s_mov_b64 exec, s[36:37]                                   // 0000000093C4: BEFE0124
	s_mov_b64 exec, s[32:33]                                   // 0000000093C8: BEFE0120
	global_atomic_pk_add_f16 v92, v77, s[8:9] offset:256       // 0000000093CC: DD388100 00084D5C
	s_mov_b64 exec, s[36:37]                                   // 0000000093D4: BEFE0124
	s_mov_b64 exec, s[34:35]                                   // 0000000093D8: BEFE0122
	global_atomic_pk_add_f16 v94, v78, s[8:9]                  // 0000000093DC: DD388000 00084E5E
	s_mov_b64 exec, s[36:37]                                   // 0000000093E4: BEFE0124
	s_mov_b64 exec, s[34:35]                                   // 0000000093E8: BEFE0122
	global_atomic_pk_add_f16 v94, v79, s[8:9] offset:256       // 0000000093EC: DD388100 00084F5E
	s_mov_b64 exec, s[36:37]                                   // 0000000093F4: BEFE0124
	s_add_u32 s8, s59, s8                                      // 0000000093F8: 8008083B
	s_addc_u32 s9, 0, s9                                       // 0000000093FC: 82090980
	s_addk_i32 s80, 0x100                                      // 000000009400: B7500100
	s_cmp_lt_i32 s80, s81                                      // 000000009404: BF045150
	s_cbranch_scc0 label_0E16                                  // 000000009408: BF84F493
	s_branch label_158F                                        // 00000000940C: BF82FC0B

0000000000009410 <label_1984>:
	s_waitcnt vmcnt(0) expcnt(0) lgkmcnt(0)                    // 000000009410: BF8C0000
	s_add_u32 s100, s100, 1                                    // 000000009414: 80648164
	s_cmp_eq_u32 s96, 0                                        // 000000009418: BF068060
	s_cbranch_scc0 label_0039                                  // 00000000941C: BF84E6B1

0000000000009420 <label_1988>:
	s_waitcnt vmcnt(0) expcnt(0) lgkmcnt(0)                    // 000000009420: BF8C0000
	s_endpgm                                                   // 000000009424: BF810000
